;; amdgpu-corpus repo=ROCm/rocFFT kind=compiled arch=gfx1201 opt=O3
	.text
	.amdgcn_target "amdgcn-amd-amdhsa--gfx1201"
	.amdhsa_code_object_version 6
	.protected	fft_rtc_fwd_len4050_factors_10_5_3_3_3_3_wgs_135_tpt_135_halfLds_dp_ip_CI_unitstride_sbrr_R2C_dirReg ; -- Begin function fft_rtc_fwd_len4050_factors_10_5_3_3_3_3_wgs_135_tpt_135_halfLds_dp_ip_CI_unitstride_sbrr_R2C_dirReg
	.globl	fft_rtc_fwd_len4050_factors_10_5_3_3_3_3_wgs_135_tpt_135_halfLds_dp_ip_CI_unitstride_sbrr_R2C_dirReg
	.p2align	8
	.type	fft_rtc_fwd_len4050_factors_10_5_3_3_3_3_wgs_135_tpt_135_halfLds_dp_ip_CI_unitstride_sbrr_R2C_dirReg,@function
fft_rtc_fwd_len4050_factors_10_5_3_3_3_3_wgs_135_tpt_135_halfLds_dp_ip_CI_unitstride_sbrr_R2C_dirReg: ; @fft_rtc_fwd_len4050_factors_10_5_3_3_3_3_wgs_135_tpt_135_halfLds_dp_ip_CI_unitstride_sbrr_R2C_dirReg
; %bb.0:
	s_clause 0x2
	s_load_b128 s[4:7], s[0:1], 0x0
	s_load_b64 s[8:9], s[0:1], 0x50
	s_load_b64 s[10:11], s[0:1], 0x18
	v_mul_u32_u24_e32 v1, 0x1e6, v0
	v_mov_b32_e32 v3, 0
	s_delay_alu instid0(VALU_DEP_2) | instskip(NEXT) | instid1(VALU_DEP_1)
	v_lshrrev_b32_e32 v1, 16, v1
	v_add_nc_u32_e32 v5, ttmp9, v1
	v_mov_b32_e32 v1, 0
	v_mov_b32_e32 v2, 0
	;; [unrolled: 1-line block ×3, first 2 shown]
	s_wait_kmcnt 0x0
	v_cmp_lt_u64_e64 s2, s[6:7], 2
	s_delay_alu instid0(VALU_DEP_1)
	s_and_b32 vcc_lo, exec_lo, s2
	s_cbranch_vccnz .LBB0_8
; %bb.1:
	s_load_b64 s[2:3], s[0:1], 0x10
	v_mov_b32_e32 v1, 0
	v_mov_b32_e32 v2, 0
	s_add_nc_u64 s[12:13], s[10:11], 8
	s_mov_b64 s[14:15], 1
	s_wait_kmcnt 0x0
	s_add_nc_u64 s[16:17], s[2:3], 8
	s_mov_b32 s3, 0
.LBB0_2:                                ; =>This Inner Loop Header: Depth=1
	s_load_b64 s[18:19], s[16:17], 0x0
                                        ; implicit-def: $vgpr7_vgpr8
	s_mov_b32 s2, exec_lo
	s_wait_kmcnt 0x0
	v_or_b32_e32 v4, s19, v6
	s_delay_alu instid0(VALU_DEP_1)
	v_cmpx_ne_u64_e32 0, v[3:4]
	s_wait_alu 0xfffe
	s_xor_b32 s20, exec_lo, s2
	s_cbranch_execz .LBB0_4
; %bb.3:                                ;   in Loop: Header=BB0_2 Depth=1
	s_cvt_f32_u32 s2, s18
	s_cvt_f32_u32 s21, s19
	s_sub_nc_u64 s[24:25], 0, s[18:19]
	s_wait_alu 0xfffe
	s_delay_alu instid0(SALU_CYCLE_1) | instskip(SKIP_1) | instid1(SALU_CYCLE_2)
	s_fmamk_f32 s2, s21, 0x4f800000, s2
	s_wait_alu 0xfffe
	v_s_rcp_f32 s2, s2
	s_delay_alu instid0(TRANS32_DEP_1) | instskip(SKIP_1) | instid1(SALU_CYCLE_2)
	s_mul_f32 s2, s2, 0x5f7ffffc
	s_wait_alu 0xfffe
	s_mul_f32 s21, s2, 0x2f800000
	s_wait_alu 0xfffe
	s_delay_alu instid0(SALU_CYCLE_2) | instskip(SKIP_1) | instid1(SALU_CYCLE_2)
	s_trunc_f32 s21, s21
	s_wait_alu 0xfffe
	s_fmamk_f32 s2, s21, 0xcf800000, s2
	s_cvt_u32_f32 s23, s21
	s_wait_alu 0xfffe
	s_delay_alu instid0(SALU_CYCLE_1) | instskip(SKIP_1) | instid1(SALU_CYCLE_2)
	s_cvt_u32_f32 s22, s2
	s_wait_alu 0xfffe
	s_mul_u64 s[26:27], s[24:25], s[22:23]
	s_wait_alu 0xfffe
	s_mul_hi_u32 s29, s22, s27
	s_mul_i32 s28, s22, s27
	s_mul_hi_u32 s2, s22, s26
	s_mul_i32 s30, s23, s26
	s_wait_alu 0xfffe
	s_add_nc_u64 s[28:29], s[2:3], s[28:29]
	s_mul_hi_u32 s21, s23, s26
	s_mul_hi_u32 s31, s23, s27
	s_add_co_u32 s2, s28, s30
	s_wait_alu 0xfffe
	s_add_co_ci_u32 s2, s29, s21
	s_mul_i32 s26, s23, s27
	s_add_co_ci_u32 s27, s31, 0
	s_wait_alu 0xfffe
	s_add_nc_u64 s[26:27], s[2:3], s[26:27]
	s_wait_alu 0xfffe
	v_add_co_u32 v4, s2, s22, s26
	s_delay_alu instid0(VALU_DEP_1) | instskip(SKIP_1) | instid1(VALU_DEP_1)
	s_cmp_lg_u32 s2, 0
	s_add_co_ci_u32 s23, s23, s27
	v_readfirstlane_b32 s22, v4
	s_wait_alu 0xfffe
	s_delay_alu instid0(VALU_DEP_1)
	s_mul_u64 s[24:25], s[24:25], s[22:23]
	s_wait_alu 0xfffe
	s_mul_hi_u32 s27, s22, s25
	s_mul_i32 s26, s22, s25
	s_mul_hi_u32 s2, s22, s24
	s_mul_i32 s28, s23, s24
	s_wait_alu 0xfffe
	s_add_nc_u64 s[26:27], s[2:3], s[26:27]
	s_mul_hi_u32 s21, s23, s24
	s_mul_hi_u32 s22, s23, s25
	s_wait_alu 0xfffe
	s_add_co_u32 s2, s26, s28
	s_add_co_ci_u32 s2, s27, s21
	s_mul_i32 s24, s23, s25
	s_add_co_ci_u32 s25, s22, 0
	s_wait_alu 0xfffe
	s_add_nc_u64 s[24:25], s[2:3], s[24:25]
	s_wait_alu 0xfffe
	v_add_co_u32 v4, s2, v4, s24
	s_delay_alu instid0(VALU_DEP_1) | instskip(SKIP_1) | instid1(VALU_DEP_1)
	s_cmp_lg_u32 s2, 0
	s_add_co_ci_u32 s2, s23, s25
	v_mul_hi_u32 v13, v5, v4
	s_wait_alu 0xfffe
	v_mad_co_u64_u32 v[7:8], null, v5, s2, 0
	v_mad_co_u64_u32 v[9:10], null, v6, v4, 0
	;; [unrolled: 1-line block ×3, first 2 shown]
	s_delay_alu instid0(VALU_DEP_3) | instskip(SKIP_1) | instid1(VALU_DEP_4)
	v_add_co_u32 v4, vcc_lo, v13, v7
	s_wait_alu 0xfffd
	v_add_co_ci_u32_e32 v7, vcc_lo, 0, v8, vcc_lo
	s_delay_alu instid0(VALU_DEP_2) | instskip(SKIP_1) | instid1(VALU_DEP_2)
	v_add_co_u32 v4, vcc_lo, v4, v9
	s_wait_alu 0xfffd
	v_add_co_ci_u32_e32 v4, vcc_lo, v7, v10, vcc_lo
	s_wait_alu 0xfffd
	v_add_co_ci_u32_e32 v7, vcc_lo, 0, v12, vcc_lo
	s_delay_alu instid0(VALU_DEP_2) | instskip(SKIP_1) | instid1(VALU_DEP_2)
	v_add_co_u32 v4, vcc_lo, v4, v11
	s_wait_alu 0xfffd
	v_add_co_ci_u32_e32 v9, vcc_lo, 0, v7, vcc_lo
	s_delay_alu instid0(VALU_DEP_2) | instskip(SKIP_1) | instid1(VALU_DEP_3)
	v_mul_lo_u32 v10, s19, v4
	v_mad_co_u64_u32 v[7:8], null, s18, v4, 0
	v_mul_lo_u32 v11, s18, v9
	s_delay_alu instid0(VALU_DEP_2) | instskip(NEXT) | instid1(VALU_DEP_2)
	v_sub_co_u32 v7, vcc_lo, v5, v7
	v_add3_u32 v8, v8, v11, v10
	s_delay_alu instid0(VALU_DEP_1) | instskip(SKIP_1) | instid1(VALU_DEP_1)
	v_sub_nc_u32_e32 v10, v6, v8
	s_wait_alu 0xfffd
	v_subrev_co_ci_u32_e64 v10, s2, s19, v10, vcc_lo
	v_add_co_u32 v11, s2, v4, 2
	s_wait_alu 0xf1ff
	v_add_co_ci_u32_e64 v12, s2, 0, v9, s2
	v_sub_co_u32 v13, s2, v7, s18
	v_sub_co_ci_u32_e32 v8, vcc_lo, v6, v8, vcc_lo
	s_wait_alu 0xf1ff
	v_subrev_co_ci_u32_e64 v10, s2, 0, v10, s2
	s_delay_alu instid0(VALU_DEP_3) | instskip(NEXT) | instid1(VALU_DEP_3)
	v_cmp_le_u32_e32 vcc_lo, s18, v13
	v_cmp_eq_u32_e64 s2, s19, v8
	s_wait_alu 0xfffd
	v_cndmask_b32_e64 v13, 0, -1, vcc_lo
	v_cmp_le_u32_e32 vcc_lo, s19, v10
	s_wait_alu 0xfffd
	v_cndmask_b32_e64 v14, 0, -1, vcc_lo
	v_cmp_le_u32_e32 vcc_lo, s18, v7
	;; [unrolled: 3-line block ×3, first 2 shown]
	s_wait_alu 0xfffd
	v_cndmask_b32_e64 v15, 0, -1, vcc_lo
	v_cmp_eq_u32_e32 vcc_lo, s19, v10
	s_wait_alu 0xf1ff
	s_delay_alu instid0(VALU_DEP_2)
	v_cndmask_b32_e64 v7, v15, v7, s2
	s_wait_alu 0xfffd
	v_cndmask_b32_e32 v10, v14, v13, vcc_lo
	v_add_co_u32 v13, vcc_lo, v4, 1
	s_wait_alu 0xfffd
	v_add_co_ci_u32_e32 v14, vcc_lo, 0, v9, vcc_lo
	s_delay_alu instid0(VALU_DEP_3) | instskip(SKIP_2) | instid1(VALU_DEP_3)
	v_cmp_ne_u32_e32 vcc_lo, 0, v10
	s_wait_alu 0xfffd
	v_cndmask_b32_e32 v10, v13, v11, vcc_lo
	v_cndmask_b32_e32 v8, v14, v12, vcc_lo
	v_cmp_ne_u32_e32 vcc_lo, 0, v7
	s_wait_alu 0xfffd
	s_delay_alu instid0(VALU_DEP_2)
	v_dual_cndmask_b32 v7, v4, v10 :: v_dual_cndmask_b32 v8, v9, v8
.LBB0_4:                                ;   in Loop: Header=BB0_2 Depth=1
	s_wait_alu 0xfffe
	s_and_not1_saveexec_b32 s2, s20
	s_cbranch_execz .LBB0_6
; %bb.5:                                ;   in Loop: Header=BB0_2 Depth=1
	v_cvt_f32_u32_e32 v4, s18
	s_sub_co_i32 s20, 0, s18
	s_delay_alu instid0(VALU_DEP_1) | instskip(NEXT) | instid1(TRANS32_DEP_1)
	v_rcp_iflag_f32_e32 v4, v4
	v_mul_f32_e32 v4, 0x4f7ffffe, v4
	s_delay_alu instid0(VALU_DEP_1) | instskip(SKIP_1) | instid1(VALU_DEP_1)
	v_cvt_u32_f32_e32 v4, v4
	s_wait_alu 0xfffe
	v_mul_lo_u32 v7, s20, v4
	s_delay_alu instid0(VALU_DEP_1) | instskip(NEXT) | instid1(VALU_DEP_1)
	v_mul_hi_u32 v7, v4, v7
	v_add_nc_u32_e32 v4, v4, v7
	s_delay_alu instid0(VALU_DEP_1) | instskip(NEXT) | instid1(VALU_DEP_1)
	v_mul_hi_u32 v4, v5, v4
	v_mul_lo_u32 v7, v4, s18
	v_add_nc_u32_e32 v8, 1, v4
	s_delay_alu instid0(VALU_DEP_2) | instskip(NEXT) | instid1(VALU_DEP_1)
	v_sub_nc_u32_e32 v7, v5, v7
	v_subrev_nc_u32_e32 v9, s18, v7
	v_cmp_le_u32_e32 vcc_lo, s18, v7
	s_wait_alu 0xfffd
	s_delay_alu instid0(VALU_DEP_2) | instskip(NEXT) | instid1(VALU_DEP_1)
	v_dual_cndmask_b32 v7, v7, v9 :: v_dual_cndmask_b32 v4, v4, v8
	v_cmp_le_u32_e32 vcc_lo, s18, v7
	s_delay_alu instid0(VALU_DEP_2) | instskip(SKIP_1) | instid1(VALU_DEP_1)
	v_add_nc_u32_e32 v8, 1, v4
	s_wait_alu 0xfffd
	v_dual_cndmask_b32 v7, v4, v8 :: v_dual_mov_b32 v8, v3
.LBB0_6:                                ;   in Loop: Header=BB0_2 Depth=1
	s_wait_alu 0xfffe
	s_or_b32 exec_lo, exec_lo, s2
	s_load_b64 s[20:21], s[12:13], 0x0
	s_delay_alu instid0(VALU_DEP_1)
	v_mul_lo_u32 v4, v8, s18
	v_mul_lo_u32 v11, v7, s19
	v_mad_co_u64_u32 v[9:10], null, v7, s18, 0
	s_add_nc_u64 s[14:15], s[14:15], 1
	s_add_nc_u64 s[12:13], s[12:13], 8
	s_wait_alu 0xfffe
	v_cmp_ge_u64_e64 s2, s[14:15], s[6:7]
	s_add_nc_u64 s[16:17], s[16:17], 8
	s_delay_alu instid0(VALU_DEP_2) | instskip(NEXT) | instid1(VALU_DEP_3)
	v_add3_u32 v4, v10, v11, v4
	v_sub_co_u32 v5, vcc_lo, v5, v9
	s_wait_alu 0xfffd
	s_delay_alu instid0(VALU_DEP_2) | instskip(SKIP_3) | instid1(VALU_DEP_2)
	v_sub_co_ci_u32_e32 v4, vcc_lo, v6, v4, vcc_lo
	s_and_b32 vcc_lo, exec_lo, s2
	s_wait_kmcnt 0x0
	v_mul_lo_u32 v6, s21, v5
	v_mul_lo_u32 v4, s20, v4
	v_mad_co_u64_u32 v[1:2], null, s20, v5, v[1:2]
	s_delay_alu instid0(VALU_DEP_1)
	v_add3_u32 v2, v6, v2, v4
	s_wait_alu 0xfffe
	s_cbranch_vccnz .LBB0_9
; %bb.7:                                ;   in Loop: Header=BB0_2 Depth=1
	v_dual_mov_b32 v5, v7 :: v_dual_mov_b32 v6, v8
	s_branch .LBB0_2
.LBB0_8:
	v_dual_mov_b32 v8, v6 :: v_dual_mov_b32 v7, v5
.LBB0_9:
	s_lshl_b64 s[2:3], s[6:7], 3
	v_mul_hi_u32 v3, 0x1e573ad, v0
	s_wait_alu 0xfffe
	s_add_nc_u64 s[2:3], s[10:11], s[2:3]
	s_load_b64 s[0:1], s[0:1], 0x20
	s_load_b64 s[2:3], s[2:3], 0x0
	s_delay_alu instid0(VALU_DEP_1) | instskip(NEXT) | instid1(VALU_DEP_1)
	v_mul_u32_u24_e32 v3, 0x87, v3
	v_sub_nc_u32_e32 v112, v0, v3
	s_delay_alu instid0(VALU_DEP_1)
	v_add_nc_u32_e32 v117, 0x87, v112
	v_add_nc_u32_e32 v125, 0x10e, v112
	;; [unrolled: 1-line block ×4, first 2 shown]
	s_wait_kmcnt 0x0
	v_cmp_gt_u64_e32 vcc_lo, s[0:1], v[7:8]
	v_mul_lo_u32 v3, s2, v8
	v_mul_lo_u32 v4, s3, v7
	v_mad_co_u64_u32 v[0:1], null, s2, v7, v[1:2]
	v_cmp_le_u64_e64 s0, s[0:1], v[7:8]
	v_add_nc_u32_e32 v123, 0x21c, v112
	v_add_nc_u32_e32 v122, 0x2a3, v112
	;; [unrolled: 1-line block ×5, first 2 shown]
	v_add3_u32 v1, v4, v1, v3
	s_and_saveexec_b32 s1, s0
	s_wait_alu 0xfffe
	s_xor_b32 s0, exec_lo, s1
; %bb.10:
	v_add_nc_u32_e32 v117, 0x87, v112
	v_add_nc_u32_e32 v125, 0x10e, v112
	;; [unrolled: 1-line block ×9, first 2 shown]
; %bb.11:
	s_wait_alu 0xfffe
	s_or_saveexec_b32 s1, s0
	v_lshlrev_b64_e32 v[114:115], 4, v[0:1]
	s_wait_alu 0xfffe
	s_xor_b32 exec_lo, exec_lo, s1
	s_cbranch_execz .LBB0_13
; %bb.12:
	v_mov_b32_e32 v113, 0
	s_delay_alu instid0(VALU_DEP_2) | instskip(SKIP_2) | instid1(VALU_DEP_3)
	v_add_co_u32 v2, s0, s8, v114
	s_wait_alu 0xf1ff
	v_add_co_ci_u32_e64 v3, s0, s9, v115, s0
	v_lshlrev_b64_e32 v[0:1], 4, v[112:113]
	v_lshl_add_u32 v113, v112, 4, 0
	s_delay_alu instid0(VALU_DEP_2) | instskip(SKIP_1) | instid1(VALU_DEP_3)
	v_add_co_u32 v130, s0, v2, v0
	s_wait_alu 0xf1ff
	v_add_co_ci_u32_e64 v131, s0, v3, v1, s0
	s_clause 0x1d
	global_load_b128 v[0:3], v[130:131], off
	global_load_b128 v[4:7], v[130:131], off offset:2160
	global_load_b128 v[8:11], v[130:131], off offset:4320
	;; [unrolled: 1-line block ×29, first 2 shown]
	s_wait_loadcnt 0x1d
	ds_store_b128 v113, v[0:3]
	s_wait_loadcnt 0x1c
	ds_store_b128 v113, v[4:7] offset:2160
	s_wait_loadcnt 0x1b
	ds_store_b128 v113, v[8:11] offset:4320
	;; [unrolled: 2-line block ×29, first 2 shown]
.LBB0_13:
	s_or_b32 exec_lo, exec_lo, s1
	v_lshlrev_b32_e32 v113, 4, v112
	global_wb scope:SCOPE_SE
	s_wait_dscnt 0x0
	s_barrier_signal -1
	s_barrier_wait -1
	global_inv scope:SCOPE_SE
	v_add_nc_u32_e32 v127, 0, v113
	s_mov_b32 s10, 0x134454ff
	s_mov_b32 s11, 0x3fee6f0e
	;; [unrolled: 1-line block ×4, first 2 shown]
	ds_load_b128 v[32:35], v127 offset:12960
	ds_load_b128 v[16:19], v127
	ds_load_b128 v[28:31], v127 offset:19440
	ds_load_b128 v[20:23], v127 offset:6480
	;; [unrolled: 1-line block ×24, first 2 shown]
	s_mov_b32 s2, 0x4755a5e
	s_mov_b32 s3, 0x3fe2cf23
	;; [unrolled: 1-line block ×3, first 2 shown]
	s_wait_alu 0xfffe
	s_mov_b32 s6, s2
	s_wait_dscnt 0xf
	v_add_f64_e32 v[174:175], v[78:79], v[74:75]
	v_add_f64_e64 v[180:181], v[78:79], -v[74:75]
	v_add_f64_e64 v[184:185], v[76:77], -v[72:73]
	s_wait_dscnt 0xc
	v_add_f64_e32 v[154:155], v[68:69], v[88:89]
	v_add_f64_e64 v[158:159], v[70:71], -v[90:91]
	s_wait_dscnt 0xa
	v_add_f64_e64 v[162:163], v[96:97], -v[88:89]
	v_add_f64_e64 v[172:173], v[88:89], -v[96:97]
	v_add_f64_e32 v[176:177], v[70:71], v[90:91]
	v_add_f64_e32 v[168:169], v[32:33], v[96:97]
	v_add_f64_e32 v[40:41], v[16:17], v[32:33]
	v_add_f64_e32 v[42:43], v[18:19], v[34:35]
	v_add_f64_e32 v[56:57], v[20:21], v[28:29]
	v_add_f64_e32 v[58:59], v[22:23], v[30:31]
	s_wait_dscnt 0x3
	v_add_f64_e32 v[164:165], v[64:65], v[104:105]
	v_add_f64_e32 v[136:137], v[12:13], v[24:25]
	;; [unrolled: 1-line block ×6, first 2 shown]
	v_add_f64_e64 v[182:183], v[30:31], -v[82:83]
	v_add_f64_e64 v[186:187], v[68:69], -v[88:89]
	;; [unrolled: 1-line block ×4, first 2 shown]
	v_add_f64_e32 v[148:149], v[76:77], v[72:73]
	v_add_f64_e32 v[152:153], v[28:29], v[80:81]
	v_add_f64_e64 v[156:157], v[34:35], -v[98:99]
	v_add_f64_e64 v[160:161], v[32:33], -v[68:69]
	;; [unrolled: 1-line block ×9, first 2 shown]
	v_add_f64_e32 v[200:201], v[86:87], v[94:95]
	v_add_f64_e64 v[202:203], v[26:27], -v[86:87]
	v_add_f64_e64 v[204:205], v[26:27], -v[102:103]
	s_mov_b32 s0, 0x372fe950
	s_mov_b32 s1, 0x3fd3c6ef
	s_mov_b32 s14, 0x9b97f4a8
	s_mov_b32 s15, 0x3fe9e377
	s_wait_dscnt 0x0
	v_add_f64_e64 v[216:217], v[36:37], -v[60:61]
	v_add_f64_e64 v[222:223], v[38:39], -v[62:63]
	;; [unrolled: 1-line block ×3, first 2 shown]
	v_mul_u32_u24_e32 v118, 10, v112
	v_fma_f64 v[168:169], v[168:169], -0.5, v[16:17]
	v_add_f64_e32 v[140:141], v[40:41], v[68:69]
	v_add_f64_e32 v[142:143], v[42:43], v[70:71]
	;; [unrolled: 1-line block ×5, first 2 shown]
	ds_load_b128 v[128:131], v127 offset:47520
	ds_load_b128 v[40:43], v127 offset:49680
	v_add_f64_e32 v[136:137], v[136:137], v[84:85]
	v_add_f64_e32 v[138:139], v[138:139], v[86:87]
	;; [unrolled: 1-line block ×3, first 2 shown]
	v_fma_f64 v[150:151], v[150:151], -0.5, v[22:23]
	ds_load_b128 v[132:135], v127 offset:60480
	ds_load_b128 v[56:59], v127 offset:62640
	v_add_f64_e64 v[68:69], v[34:35], -v[70:71]
	v_add_f64_e64 v[34:35], v[70:71], -v[34:35]
	;; [unrolled: 1-line block ×5, first 2 shown]
	v_fma_f64 v[178:179], v[178:179], -0.5, v[18:19]
	v_fma_f64 v[18:19], v[176:177], -0.5, v[18:19]
	v_add_f64_e64 v[86:87], v[86:87], -v[26:27]
	v_fma_f64 v[148:149], v[148:149], -0.5, v[20:21]
	v_fma_f64 v[20:21], v[152:153], -0.5, v[20:21]
	;; [unrolled: 1-line block ×3, first 2 shown]
	v_add_f64_e32 v[152:153], v[24:25], v[100:101]
	v_add_f64_e64 v[174:175], v[24:25], -v[100:101]
	s_wait_dscnt 0x3
	v_add_f64_e32 v[176:177], v[108:109], v[128:129]
	v_add_f64_e32 v[24:25], v[26:27], v[102:103]
	v_add_f64_e64 v[26:27], v[100:101], -v[92:93]
	v_fma_f64 v[16:17], v[154:155], -0.5, v[16:17]
	v_add_f64_e64 v[154:155], v[102:103], -v[94:95]
	s_wait_dscnt 0x1
	v_add_f64_e32 v[206:207], v[104:105], v[132:133]
	v_add_f64_e64 v[208:209], v[132:133], -v[128:129]
	v_add_f64_e64 v[210:211], v[134:135], -v[130:131]
	v_add_f64_e32 v[160:161], v[160:161], v[162:163]
	v_add_f64_e64 v[214:215], v[62:63], -v[42:43]
	v_add_f64_e64 v[220:221], v[60:61], -v[40:41]
	v_lshl_add_u32 v126, v118, 4, 0
	v_and_b32_e32 v118, 0xff, v112
	global_wb scope:SCOPE_SE
	s_wait_dscnt 0x0
	v_add_f64_e32 v[78:79], v[140:141], v[88:89]
	v_add_f64_e32 v[88:89], v[142:143], v[90:91]
	;; [unrolled: 1-line block ×4, first 2 shown]
	v_add_f64_e64 v[144:145], v[82:83], -v[74:75]
	v_add_f64_e64 v[74:75], v[74:75], -v[82:83]
	v_add_f64_e32 v[164:165], v[164:165], v[128:129]
	v_add_f64_e64 v[90:91], v[80:81], -v[72:73]
	v_add_f64_e64 v[72:73], v[72:73], -v[80:81]
	v_add_f64_e32 v[136:137], v[136:137], v[92:93]
	v_add_f64_e32 v[138:139], v[138:139], v[94:95]
	;; [unrolled: 1-line block ×4, first 2 shown]
	v_add_f64_e64 v[84:85], v[84:85], -v[92:93]
	v_add_f64_e64 v[92:93], v[92:93], -v[100:101]
	;; [unrolled: 1-line block ×3, first 2 shown]
	v_add_f64_e32 v[34:35], v[34:35], v[188:189]
	v_fma_f64 v[188:189], v[200:201], -0.5, v[14:15]
	v_add_f64_e32 v[162:163], v[68:69], v[70:71]
	v_add_f64_e32 v[68:69], v[44:45], v[0:1]
	;; [unrolled: 1-line block ×4, first 2 shown]
	v_fma_f64 v[152:153], v[152:153], -0.5, v[12:13]
	s_barrier_signal -1
	v_fma_f64 v[176:177], v[176:177], -0.5, v[64:65]
	s_barrier_wait -1
	global_inv scope:SCOPE_SE
	v_add_f64_e32 v[78:79], v[78:79], v[96:97]
	v_add_f64_e32 v[88:89], v[88:89], v[98:99]
	v_add_f64_e64 v[98:99], v[104:105], -v[108:109]
	v_add_f64_e32 v[80:81], v[140:141], v[80:81]
	v_add_f64_e64 v[140:141], v[108:109], -v[104:105]
	v_add_f64_e64 v[108:109], v[108:109], -v[128:129]
	;; [unrolled: 1-line block ×4, first 2 shown]
	v_add_f64_e32 v[132:133], v[164:165], v[132:133]
	v_add_f64_e32 v[30:31], v[30:31], v[74:75]
	v_fma_f64 v[74:75], v[184:185], s[10:11], v[150:151]
	v_fma_f64 v[150:151], v[184:185], s[12:13], v[150:151]
	;; [unrolled: 1-line block ×3, first 2 shown]
	v_add_f64_e64 v[96:97], v[110:111], -v[130:131]
	v_add_f64_e32 v[82:83], v[142:143], v[82:83]
	v_add_f64_e32 v[142:143], v[110:111], v[130:131]
	;; [unrolled: 1-line block ×4, first 2 shown]
	v_add_f64_e64 v[136:137], v[106:107], -v[110:111]
	v_add_f64_e64 v[110:111], v[110:111], -v[106:107]
	;; [unrolled: 1-line block ×3, first 2 shown]
	v_add_f64_e32 v[106:107], v[106:107], v[134:135]
	v_add_f64_e64 v[130:131], v[130:131], -v[134:135]
	v_add_f64_e32 v[134:135], v[166:167], v[134:135]
	v_add_f64_e32 v[166:167], v[170:171], v[172:173]
	v_fma_f64 v[170:171], v[186:187], s[10:11], v[178:179]
	v_fma_f64 v[172:173], v[186:187], s[12:13], v[178:179]
	v_add_f64_e32 v[90:91], v[190:191], v[90:91]
	v_add_f64_e32 v[72:73], v[76:77], v[72:73]
	v_fma_f64 v[76:77], v[180:181], s[12:13], v[20:21]
	v_fma_f64 v[20:21], v[180:181], s[10:11], v[20:21]
	;; [unrolled: 1-line block ×4, first 2 shown]
	v_fma_f64 v[190:191], v[24:25], -0.5, v[14:15]
	v_fma_f64 v[14:15], v[28:29], s[10:11], v[22:23]
	v_fma_f64 v[148:149], v[182:183], s[12:13], v[148:149]
	v_fma_f64 v[146:147], v[146:147], -0.5, v[12:13]
	v_fma_f64 v[12:13], v[206:207], -0.5, v[64:65]
	v_add_f64_e32 v[64:65], v[54:55], v[10:11]
	v_add_f64_e32 v[144:145], v[192:193], v[144:145]
	v_add_f64_e32 v[98:99], v[98:99], v[208:209]
	v_fma_f64 v[208:209], v[68:69], -0.5, v[4:5]
	v_fma_f64 v[212:213], v[70:71], -0.5, v[6:7]
	v_add_f64_e32 v[192:193], v[62:63], v[42:43]
	v_add_f64_e32 v[200:201], v[200:201], v[62:63]
	;; [unrolled: 1-line block ×5, first 2 shown]
	s_wait_alu 0xfffe
	v_fma_f64 v[74:75], v[28:29], s[6:7], v[74:75]
	v_fma_f64 v[150:151], v[28:29], s[2:3], v[150:151]
	;; [unrolled: 1-line block ×3, first 2 shown]
	v_add_f64_e32 v[62:63], v[88:89], v[82:83]
	v_fma_f64 v[142:143], v[142:143], -0.5, v[66:67]
	v_add_f64_e32 v[136:137], v[136:137], v[210:211]
	v_fma_f64 v[106:107], v[106:107], -0.5, v[66:67]
	v_add_f64_e32 v[66:67], v[48:49], v[36:37]
	v_add_f64_e32 v[110:111], v[110:111], v[130:131]
	v_fma_f64 v[170:171], v[32:33], s[6:7], v[170:171]
	v_fma_f64 v[172:173], v[32:33], s[2:3], v[172:173]
	;; [unrolled: 1-line block ×7, first 2 shown]
	v_add_f64_e32 v[156:157], v[4:5], v[44:45]
	v_fma_f64 v[148:149], v[180:181], s[6:7], v[148:149]
	v_fma_f64 v[210:211], v[64:65], -0.5, v[6:7]
	v_add_f64_e64 v[64:65], v[78:79], -v[80:81]
	v_fma_f64 v[74:75], v[30:31], s[0:1], v[74:75]
	v_fma_f64 v[30:31], v[30:31], s[0:1], v[150:151]
	;; [unrolled: 1-line block ×6, first 2 shown]
	v_add_f64_e32 v[164:165], v[196:197], v[26:27]
	v_add_f64_e32 v[26:27], v[52:53], v[8:9]
	;; [unrolled: 1-line block ×3, first 2 shown]
	v_fma_f64 v[24:25], v[34:35], s[0:1], v[170:171]
	v_fma_f64 v[34:35], v[34:35], s[0:1], v[172:173]
	v_add_f64_e32 v[172:173], v[60:61], v[40:41]
	v_add_f64_e64 v[170:171], v[46:47], -v[54:55]
	v_fma_f64 v[76:77], v[72:73], s[0:1], v[76:77]
	v_fma_f64 v[20:21], v[72:73], s[0:1], v[20:21]
	v_add_f64_e32 v[72:73], v[6:7], v[46:47]
	v_fma_f64 v[28:29], v[166:167], s[0:1], v[168:169]
	v_add_f64_e64 v[166:167], v[44:45], -v[52:53]
	v_add_f64_e32 v[130:131], v[156:157], v[52:53]
	v_add_f64_e64 v[156:157], v[54:55], -v[10:11]
	v_add_f64_e64 v[168:169], v[52:53], -v[44:45]
	;; [unrolled: 1-line block ×4, first 2 shown]
	v_fma_f64 v[32:33], v[186:187], s[2:3], v[32:33]
	v_fma_f64 v[6:7], v[184:185], s[6:7], v[18:19]
	v_fma_f64 v[206:207], v[26:27], -0.5, v[4:5]
	v_fma_f64 v[4:5], v[180:181], s[2:3], v[178:179]
	v_fma_f64 v[180:181], v[96:97], s[10:11], v[12:13]
	v_add_f64_e32 v[140:141], v[72:73], v[54:55]
	v_add_f64_e32 v[72:73], v[36:37], v[56:57]
	v_add_f64_e64 v[54:55], v[54:55], -v[46:47]
	v_add_f64_e64 v[46:47], v[46:47], -v[2:3]
	v_fma_f64 v[32:33], v[162:163], s[0:1], v[32:33]
	v_fma_f64 v[6:7], v[144:145], s[0:1], v[6:7]
	;; [unrolled: 1-line block ×4, first 2 shown]
	v_fma_f64 v[218:219], v[72:73], -0.5, v[48:49]
	v_fma_f64 v[48:49], v[172:173], -0.5, v[48:49]
	;; [unrolled: 1-line block ×4, first 2 shown]
	v_add_f64_e64 v[192:193], v[60:61], -v[36:37]
	v_add_f64_e32 v[196:197], v[66:67], v[60:61]
	v_add_f64_e32 v[60:61], v[78:79], v[80:81]
	v_fma_f64 v[80:81], v[138:139], s[12:13], v[176:177]
	v_add_f64_e64 v[36:37], v[36:37], -v[56:57]
	v_add_f64_e64 v[66:67], v[88:89], -v[82:83]
	v_fma_f64 v[88:89], v[138:139], s[6:7], v[180:181]
	v_fma_f64 v[180:181], v[44:45], s[12:13], v[210:211]
	v_mul_f64_e32 v[18:19], s[14:15], v[4:5]
	v_mul_f64_e32 v[4:5], s[6:7], v[4:5]
	v_fma_f64 v[148:149], v[214:215], s[10:11], v[218:219]
	v_fma_f64 v[80:81], v[96:97], s[6:7], v[80:81]
	v_fma_f64 v[88:89], v[128:129], s[0:1], v[88:89]
	v_fma_f64 v[18:19], v[6:7], s[2:3], v[18:19]
	v_fma_f64 v[26:27], v[6:7], s[14:15], v[4:5]
	v_mul_f64_e32 v[4:5], s[10:11], v[74:75]
	v_fma_f64 v[6:7], v[186:187], s[6:7], v[150:151]
	v_fma_f64 v[150:151], v[96:97], s[12:13], v[12:13]
	v_add_f64_e32 v[12:13], v[100:101], v[132:133]
	v_fma_f64 v[186:187], v[46:47], s[12:13], v[206:207]
	v_fma_f64 v[80:81], v[98:99], s[0:1], v[80:81]
	;; [unrolled: 1-line block ×3, first 2 shown]
	v_mul_f64_e32 v[4:5], s[12:13], v[76:77]
	v_fma_f64 v[72:73], v[162:163], s[0:1], v[6:7]
	v_add_f64_e64 v[6:7], v[102:103], -v[134:135]
	v_fma_f64 v[82:83], v[138:139], s[2:3], v[150:151]
	v_fma_f64 v[150:151], v[36:37], s[10:11], v[172:173]
	;; [unrolled: 1-line block ×4, first 2 shown]
	v_mul_f64_e32 v[4:5], s[0:1], v[20:21]
	v_add_f64_e32 v[70:71], v[72:73], v[26:27]
	v_fma_f64 v[82:83], v[128:129], s[0:1], v[82:83]
	v_fma_f64 v[150:151], v[220:221], s[2:3], v[150:151]
	;; [unrolled: 1-line block ×4, first 2 shown]
	v_add_f64_e32 v[74:75], v[24:25], v[76:77]
	v_fma_f64 v[226:227], v[30:31], s[10:11], -v[4:5]
	v_mul_f64_e32 v[4:5], s[0:1], v[30:31]
	v_fma_f64 v[128:129], v[174:175], s[6:7], v[128:129]
	s_delay_alu instid0(VALU_DEP_2)
	v_fma_f64 v[30:31], v[20:21], s[12:13], -v[4:5]
	v_fma_f64 v[4:5], v[158:159], s[2:3], v[182:183]
	v_fma_f64 v[158:159], v[158:159], s[6:7], v[16:17]
	;; [unrolled: 1-line block ×3, first 2 shown]
	v_add_f64_e32 v[14:15], v[102:103], v[134:135]
	v_fma_f64 v[102:103], v[104:105], s[10:11], v[142:143]
	v_fma_f64 v[184:185], v[52:53], s[12:13], v[212:213]
	;; [unrolled: 1-line block ×3, first 2 shown]
	v_add_f64_e32 v[78:79], v[34:35], v[30:31]
	v_fma_f64 v[20:21], v[160:161], s[0:1], v[4:5]
	v_add_f64_e64 v[4:5], v[100:101], -v[132:133]
	v_fma_f64 v[100:101], v[104:105], s[12:13], v[142:143]
	v_fma_f64 v[134:135], v[144:145], s[0:1], v[182:183]
	;; [unrolled: 1-line block ×13, first 2 shown]
	v_add_f64_e32 v[68:69], v[20:21], v[18:19]
	v_add_f64_e64 v[16:17], v[20:21], -v[18:19]
	v_add_f64_e64 v[18:19], v[72:73], -v[26:27]
	v_add_f64_e32 v[72:73], v[22:23], v[178:179]
	v_add_f64_e64 v[20:21], v[22:23], -v[178:179]
	v_add_f64_e64 v[22:23], v[24:25], -v[76:77]
	;; [unrolled: 3-line block ×3, first 2 shown]
	v_fma_f64 v[28:29], v[108:109], s[10:11], v[106:107]
	v_fma_f64 v[30:31], v[108:109], s[12:13], v[106:107]
	v_add_f64_e64 v[34:35], v[38:39], -v[58:59]
	v_fma_f64 v[38:39], v[138:139], s[10:11], v[176:177]
	v_add_f64_e64 v[106:107], v[56:57], -v[40:41]
	;; [unrolled: 2-line block ×3, first 2 shown]
	v_fma_f64 v[142:143], v[36:37], s[6:7], v[142:143]
	v_fma_f64 v[36:37], v[36:37], s[2:3], v[50:51]
	;; [unrolled: 1-line block ×4, first 2 shown]
	v_mul_f64_e32 v[50:51], s[14:15], v[90:91]
	v_fma_f64 v[188:189], v[44:45], s[10:11], v[210:211]
	v_fma_f64 v[160:161], v[194:195], s[2:3], v[160:161]
	v_fma_f64 v[172:173], v[204:205], s[2:3], v[172:173]
	v_mul_f64_e32 v[190:191], s[12:13], v[82:83]
	v_fma_f64 v[146:147], v[194:195], s[6:7], v[146:147]
	v_fma_f64 v[152:153], v[204:205], s[6:7], v[152:153]
	ds_store_b128 v126, v[60:63]
	ds_store_b128 v126, v[68:71] offset:16
	v_mul_i32_i24_e32 v60, 10, v117
	v_fma_f64 v[28:29], v[104:105], s[6:7], v[28:29]
	v_fma_f64 v[30:31], v[104:105], s[2:3], v[30:31]
	v_add_f64_e64 v[104:105], v[40:41], -v[56:57]
	v_fma_f64 v[138:139], v[34:35], s[10:11], v[48:49]
	v_fma_f64 v[38:39], v[96:97], s[2:3], v[38:39]
	v_add_f64_e64 v[96:97], v[42:43], -v[58:59]
	v_fma_f64 v[48:49], v[34:35], s[12:13], v[48:49]
	v_add_f64_e32 v[106:107], v[216:217], v[106:107]
	v_fma_f64 v[144:145], v[34:35], s[2:3], v[144:145]
	v_fma_f64 v[34:35], v[34:35], s[6:7], v[148:149]
	v_add_f64_e32 v[108:109], v[222:223], v[108:109]
	v_fma_f64 v[100:101], v[136:137], s[0:1], v[100:101]
	v_add_f64_e32 v[148:149], v[202:203], v[154:155]
	v_mul_f64_e32 v[154:155], s[14:15], v[134:135]
	v_fma_f64 v[174:175], v[174:175], s[2:3], v[176:177]
	v_fma_f64 v[84:85], v[84:85], s[2:3], v[178:179]
	v_mul_f64_e32 v[178:179], s[14:15], v[80:81]
	v_mul_f64_e32 v[176:177], s[0:1], v[88:89]
	v_add_f64_e32 v[40:41], v[196:197], v[40:41]
	v_add_f64_e32 v[42:43], v[200:201], v[42:43]
	v_fma_f64 v[50:51], v[134:135], s[2:3], -v[50:51]
	v_fma_f64 v[134:135], v[156:157], s[6:7], v[186:187]
	v_fma_f64 v[146:147], v[164:165], s[0:1], v[146:147]
	;; [unrolled: 1-line block ×5, first 2 shown]
	v_add_f64_e32 v[104:105], v[192:193], v[104:105]
	v_fma_f64 v[138:139], v[214:215], s[2:3], v[138:139]
	v_fma_f64 v[38:39], v[98:99], s[0:1], v[38:39]
	v_add_f64_e32 v[96:97], v[224:225], v[96:97]
	v_fma_f64 v[48:49], v[214:215], s[6:7], v[48:49]
	v_fma_f64 v[98:99], v[136:137], s[0:1], v[102:103]
	v_add_f64_e32 v[110:111], v[130:131], v[8:9]
	v_add_f64_e32 v[130:131], v[140:141], v[10:11]
	v_add_f64_e64 v[140:141], v[0:1], -v[8:9]
	v_add_f64_e64 v[8:9], v[8:9], -v[0:1]
	;; [unrolled: 1-line block ×3, first 2 shown]
	v_fma_f64 v[136:137], v[220:221], s[6:7], v[158:159]
	v_add_f64_e64 v[10:11], v[10:11], -v[2:3]
	v_fma_f64 v[158:159], v[46:47], s[10:11], v[206:207]
	v_fma_f64 v[150:151], v[108:109], s[0:1], v[150:151]
	v_fma_f64 v[90:91], v[90:91], s[6:7], -v[154:155]
	v_fma_f64 v[154:155], v[148:149], s[0:1], v[162:163]
	v_fma_f64 v[162:163], v[86:87], s[0:1], v[174:175]
	;; [unrolled: 1-line block ×3, first 2 shown]
	v_add_f64_e32 v[40:41], v[40:41], v[56:57]
	v_add_f64_e32 v[42:43], v[42:43], v[58:59]
	;; [unrolled: 1-line block ×3, first 2 shown]
	v_mul_f64_e32 v[94:95], s[10:11], v[28:29]
	v_mul_f64_e32 v[192:193], s[0:1], v[30:31]
	v_fma_f64 v[144:145], v[104:105], s[0:1], v[144:145]
	v_fma_f64 v[138:139], v[106:107], s[0:1], v[138:139]
	;; [unrolled: 1-line block ×8, first 2 shown]
	v_mul_f64_e32 v[106:107], s[14:15], v[38:39]
	v_mul_f64_e32 v[38:39], s[6:7], v[38:39]
	;; [unrolled: 1-line block ×3, first 2 shown]
	v_add_f64_e32 v[140:141], v[166:167], v[140:141]
	v_add_f64_e32 v[102:103], v[170:171], v[102:103]
	v_fma_f64 v[108:109], v[108:109], s[0:1], v[136:137]
	v_fma_f64 v[158:159], v[156:157], s[2:3], v[158:159]
	;; [unrolled: 1-line block ×3, first 2 shown]
	v_add_f64_e32 v[8:9], v[168:169], v[8:9]
	v_add_f64_e32 v[10:11], v[54:55], v[10:11]
	v_fma_f64 v[52:53], v[52:53], s[2:3], v[188:189]
	v_fma_f64 v[28:29], v[28:29], s[0:1], v[190:191]
	v_fma_f64 v[30:31], v[30:31], s[10:11], -v[176:177]
	v_add_f64_e32 v[0:1], v[110:111], v[0:1]
	v_add_f64_e32 v[2:3], v[130:131], v[2:3]
	v_add_f64_e32 v[58:59], v[32:33], v[90:91]
	ds_store_b128 v126, v[72:75] offset:32
	ds_store_b128 v126, v[76:79] offset:48
	;; [unrolled: 1-line block ×4, first 2 shown]
	v_mul_f64_e32 v[136:137], s[14:15], v[138:139]
	v_mul_f64_e32 v[138:139], s[6:7], v[138:139]
	v_mul_f64_e32 v[54:55], s[10:11], v[142:143]
	v_mul_f64_e32 v[168:169], s[12:13], v[144:145]
	v_fma_f64 v[104:105], v[46:47], s[2:3], v[104:105]
	v_fma_f64 v[96:97], v[44:45], s[6:7], v[96:97]
	;; [unrolled: 1-line block ×4, first 2 shown]
	v_mul_f64_e32 v[170:171], s[0:1], v[34:35]
	v_mul_f64_e32 v[180:181], s[0:1], v[36:37]
	;; [unrolled: 1-line block ×4, first 2 shown]
	v_fma_f64 v[106:107], v[100:101], s[2:3], v[106:107]
	v_fma_f64 v[38:39], v[100:101], s[14:15], v[38:39]
	;; [unrolled: 1-line block ×5, first 2 shown]
	v_fma_f64 v[164:165], v[98:99], s[2:3], -v[178:179]
	v_fma_f64 v[174:175], v[80:81], s[6:7], -v[194:195]
	v_fma_f64 v[172:173], v[88:89], s[12:13], -v[192:193]
	v_fma_f64 v[158:159], v[140:141], s[0:1], v[158:159]
	v_fma_f64 v[166:167], v[102:103], s[0:1], v[166:167]
	v_add_f64_e64 v[80:81], v[132:133], -v[50:51]
	v_add_f64_e64 v[82:83], v[32:33], -v[90:91]
	v_add_f64_e32 v[90:91], v[128:129], v[28:29]
	v_add_f64_e32 v[131:132], v[0:1], v[40:41]
	ds_store_b128 v126, v[16:19] offset:96
	ds_store_b128 v126, v[20:23] offset:112
	;; [unrolled: 1-line block ×4, first 2 shown]
	v_fma_f64 v[176:177], v[108:109], s[2:3], v[136:137]
	v_fma_f64 v[178:179], v[108:109], s[14:15], v[138:139]
	v_fma_f64 v[144:145], v[144:145], s[0:1], v[54:55]
	v_fma_f64 v[142:143], v[142:143], s[0:1], v[168:169]
	v_fma_f64 v[168:169], v[8:9], s[0:1], v[104:105]
	v_fma_f64 v[184:185], v[10:11], s[0:1], v[96:97]
	v_fma_f64 v[46:47], v[8:9], s[0:1], v[46:47]
	v_fma_f64 v[44:45], v[10:11], s[0:1], v[44:45]
	v_fma_f64 v[170:171], v[36:37], s[10:11], -v[170:171]
	v_fma_f64 v[34:35], v[34:35], s[12:13], -v[180:181]
	v_fma_f64 v[139:140], v[140:141], s[0:1], v[134:135]
	v_fma_f64 v[180:181], v[102:103], s[0:1], v[52:53]
	v_fma_f64 v[150:151], v[150:151], s[2:3], -v[156:157]
	v_fma_f64 v[156:157], v[48:49], s[6:7], -v[182:183]
	v_add_f64_e32 v[84:85], v[100:101], v[106:107]
	v_add_f64_e64 v[52:53], v[100:101], -v[106:107]
	v_add_f64_e32 v[88:89], v[160:161], v[94:95]
	v_add_f64_e32 v[104:105], v[146:147], v[164:165]
	v_add_f64_e32 v[106:107], v[148:149], v[174:175]
	v_add_f64_e32 v[86:87], v[154:155], v[38:39]
	v_add_f64_e32 v[96:97], v[152:153], v[30:31]
	v_add_f64_e32 v[98:99], v[162:163], v[172:173]
	v_add_f64_e64 v[54:55], v[154:155], -v[38:39]
	v_add_f64_e64 v[100:101], v[152:153], -v[30:31]
	;; [unrolled: 1-line block ×3, first 2 shown]
	v_add_f64_e32 v[133:134], v[2:3], v[42:43]
	v_add_f64_e64 v[8:9], v[0:1], -v[40:41]
	v_add_f64_e64 v[10:11], v[2:3], -v[42:43]
	;; [unrolled: 1-line block ×6, first 2 shown]
	v_mul_lo_u16 v16, 0xcd, v118
	v_lshl_add_u32 v130, v60, 4, 0
	ds_store_b128 v130, v[12:15]
	ds_store_b128 v130, v[84:87] offset:16
	v_add_f64_e64 v[0:1], v[158:159], -v[176:177]
	v_add_f64_e64 v[2:3], v[166:167], -v[178:179]
	v_add_f64_e32 v[36:37], v[168:169], v[144:145]
	v_add_f64_e32 v[38:39], v[184:185], v[142:143]
	v_add_f64_e64 v[28:29], v[168:169], -v[144:145]
	v_add_f64_e64 v[30:31], v[184:185], -v[142:143]
	v_add_f64_e32 v[40:41], v[46:47], v[170:171]
	v_add_f64_e32 v[42:43], v[44:45], v[34:35]
	v_add_f64_e64 v[32:33], v[46:47], -v[170:171]
	v_add_f64_e64 v[34:35], v[44:45], -v[34:35]
	v_add_f64_e32 v[48:49], v[139:140], v[150:151]
	v_add_f64_e32 v[50:51], v[180:181], v[156:157]
	v_add_f64_e32 v[135:136], v[158:159], v[176:177]
	v_add_f64_e32 v[137:138], v[166:167], v[178:179]
	v_add_f64_e64 v[44:45], v[139:140], -v[150:151]
	v_add_f64_e64 v[46:47], v[180:181], -v[156:157]
	v_lshrrev_b16 v139, 11, v16
	ds_store_b128 v130, v[88:91] offset:32
	ds_store_b128 v130, v[96:99] offset:48
	;; [unrolled: 1-line block ×4, first 2 shown]
	v_and_b32_e32 v5, 0xffff, v117
	v_mul_i32_i24_e32 v12, 10, v125
	v_mul_lo_u16 v4, v139, 10
	ds_store_b128 v130, v[52:55] offset:96
	ds_store_b128 v130, v[92:95] offset:112
	v_and_b32_e32 v16, 0xffff, v125
	v_and_b32_e32 v26, 0xffff, v124
	v_lshl_add_u32 v128, v12, 4, 0
	v_sub_nc_u16 v4, v112, v4
	ds_store_b128 v130, v[100:103] offset:128
	ds_store_b128 v130, v[108:111] offset:144
	ds_store_b128 v128, v[131:134]
	ds_store_b128 v128, v[135:138] offset:16
	v_and_b32_e32 v140, 0xff, v4
	v_mul_u32_u24_e32 v4, 0xcccd, v5
	ds_store_b128 v128, v[36:39] offset:32
	ds_store_b128 v128, v[40:43] offset:48
	;; [unrolled: 1-line block ×8, first 2 shown]
	global_wb scope:SCOPE_SE
	s_wait_dscnt 0x0
	v_lshlrev_b32_e32 v0, 6, v140
	v_lshrrev_b32_e32 v141, 19, v4
	s_barrier_signal -1
	s_barrier_wait -1
	global_inv scope:SCOPE_SE
	s_clause 0x1
	global_load_b128 v[12:15], v0, s[4:5]
	global_load_b128 v[8:11], v0, s[4:5] offset:16
	v_mul_lo_u16 v1, v141, 10
	v_mul_u32_u24_e32 v16, 0xcccd, v16
	v_mul_u32_u24_e32 v26, 0xcccd, v26
	v_lshl_add_u32 v129, v121, 4, 0
	v_lshl_add_u32 v131, v124, 4, 0
	v_sub_nc_u16 v1, v117, v1
	v_lshrrev_b32_e32 v135, 19, v16
	v_lshrrev_b32_e32 v136, 19, v26
	v_and_b32_e32 v26, 0xffff, v122
	v_and_b32_e32 v139, 0xffff, v139
	;; [unrolled: 1-line block ×3, first 2 shown]
	s_clause 0x1
	global_load_b128 v[4:7], v0, s[4:5] offset:32
	global_load_b128 v[0:3], v0, s[4:5] offset:48
	v_mul_lo_u16 v25, v135, 10
	v_mul_u32_u24_e32 v26, 0xcccd, v26
	v_mul_u32_u24_e32 v215, 0x320, v141
	v_lshlrev_b32_e32 v24, 6, v142
	v_mul_u32_u24_e32 v216, 0x320, v139
	v_sub_nc_u16 v25, v125, v25
	v_lshrrev_b32_e32 v132, 19, v26
	v_lshlrev_b32_e32 v217, 4, v140
	s_clause 0x3
	global_load_b128 v[20:23], v24, s[4:5]
	global_load_b128 v[16:19], v24, s[4:5] offset:16
	global_load_b128 v[44:47], v24, s[4:5] offset:32
	;; [unrolled: 1-line block ×3, first 2 shown]
	v_and_b32_e32 v138, 0xffff, v25
	v_mul_lo_u16 v25, v136, 10
	v_lshlrev_b32_e32 v218, 4, v142
	v_add3_u32 v221, 0, v216, v217
	s_delay_alu instid0(VALU_DEP_4) | instskip(NEXT) | instid1(VALU_DEP_4)
	v_lshlrev_b32_e32 v24, 6, v138
	v_sub_nc_u16 v25, v124, v25
	s_delay_alu instid0(VALU_DEP_4)
	v_add3_u32 v222, 0, v215, v218
	s_clause 0x3
	global_load_b128 v[32:35], v24, s[4:5]
	global_load_b128 v[48:51], v24, s[4:5] offset:16
	global_load_b128 v[36:39], v24, s[4:5] offset:32
	;; [unrolled: 1-line block ×3, first 2 shown]
	v_and_b32_e32 v137, 0xffff, v25
	v_and_b32_e32 v24, 0xffff, v123
	s_delay_alu instid0(VALU_DEP_2) | instskip(NEXT) | instid1(VALU_DEP_2)
	v_lshlrev_b32_e32 v25, 6, v137
	v_mul_u32_u24_e32 v24, 0xcccd, v24
	global_load_b128 v[56:59], v25, s[4:5]
	v_lshrrev_b32_e32 v126, 19, v24
	s_clause 0x2
	global_load_b128 v[52:55], v25, s[4:5] offset:16
	global_load_b128 v[80:83], v25, s[4:5] offset:32
	;; [unrolled: 1-line block ×3, first 2 shown]
	v_mul_lo_u16 v24, v126, 10
	s_delay_alu instid0(VALU_DEP_1) | instskip(NEXT) | instid1(VALU_DEP_1)
	v_sub_nc_u16 v24, v123, v24
	v_and_b32_e32 v133, 0xffff, v24
	s_delay_alu instid0(VALU_DEP_1)
	v_lshlrev_b32_e32 v24, 6, v133
	global_load_b128 v[72:75], v24, s[4:5]
	v_mul_lo_u16 v25, v132, 10
	s_clause 0x2
	global_load_b128 v[68:71], v24, s[4:5] offset:16
	global_load_b128 v[64:67], v24, s[4:5] offset:32
	;; [unrolled: 1-line block ×3, first 2 shown]
	v_sub_nc_u16 v25, v122, v25
	s_delay_alu instid0(VALU_DEP_1) | instskip(NEXT) | instid1(VALU_DEP_1)
	v_and_b32_e32 v134, 0xffff, v25
	v_lshlrev_b32_e32 v24, 6, v134
	s_clause 0x3
	global_load_b128 v[84:87], v24, s[4:5]
	global_load_b128 v[88:91], v24, s[4:5] offset:16
	global_load_b128 v[92:95], v24, s[4:5] offset:32
	;; [unrolled: 1-line block ×3, first 2 shown]
	ds_load_b128 v[104:107], v129
	ds_load_b128 v[100:103], v127 offset:25920
	ds_load_b128 v[96:99], v127 offset:38880
	;; [unrolled: 1-line block ×4, first 2 shown]
	ds_load_b128 v[108:111], v131
	ds_load_b128 v[151:154], v127 offset:28080
	ds_load_b128 v[163:166], v127
	ds_load_b128 v[155:158], v127 offset:41040
	ds_load_b128 v[159:162], v127 offset:54000
	;; [unrolled: 1-line block ×4, first 2 shown]
	s_wait_loadcnt_dscnt 0x170b
	v_mul_f64_e32 v[175:176], v[106:107], v[14:15]
	v_mul_f64_e32 v[14:15], v[104:105], v[14:15]
	s_wait_loadcnt_dscnt 0x160a
	v_mul_f64_e32 v[177:178], v[102:103], v[10:11]
	v_mul_f64_e32 v[179:180], v[100:101], v[10:11]
	s_wait_loadcnt_dscnt 0x1509
	v_mul_f64_e32 v[181:182], v[98:99], v[6:7]
	v_mul_f64_e32 v[183:184], v[96:97], v[6:7]
	s_wait_loadcnt_dscnt 0x1408
	v_mul_f64_e32 v[185:186], v[145:146], v[2:3]
	v_mul_f64_e32 v[2:3], v[143:144], v[2:3]
	s_wait_loadcnt_dscnt 0x1307
	v_mul_f64_e32 v[187:188], v[149:150], v[22:23]
	v_mul_f64_e32 v[22:23], v[147:148], v[22:23]
	s_wait_loadcnt_dscnt 0x1205
	v_mul_f64_e32 v[189:190], v[153:154], v[18:19]
	v_mul_f64_e32 v[191:192], v[151:152], v[18:19]
	s_wait_loadcnt_dscnt 0x1103
	v_mul_f64_e32 v[193:194], v[157:158], v[46:47]
	s_wait_loadcnt_dscnt 0x1002
	v_mul_f64_e32 v[197:198], v[161:162], v[42:43]
	v_mul_f64_e32 v[42:43], v[159:160], v[42:43]
	;; [unrolled: 1-line block ×3, first 2 shown]
	v_fma_f64 v[175:176], v[104:105], v[12:13], -v[175:176]
	v_fma_f64 v[195:196], v[106:107], v[12:13], v[14:15]
	ds_load_b128 v[10:13], v127 offset:43200
	ds_load_b128 v[104:107], v127 offset:56160
	v_fma_f64 v[177:178], v[100:101], v[8:9], -v[177:178]
	v_fma_f64 v[179:180], v[102:103], v[8:9], v[179:180]
	ds_load_b128 v[6:9], v127 offset:19440
	ds_load_b128 v[100:103], v127 offset:45360
	v_fma_f64 v[181:182], v[96:97], v[4:5], -v[181:182]
	v_fma_f64 v[183:184], v[98:99], v[4:5], v[183:184]
	s_wait_loadcnt_dscnt 0xf05
	v_mul_f64_e32 v[4:5], v[169:170], v[34:35]
	v_mul_f64_e32 v[34:35], v[167:168], v[34:35]
	ds_load_b128 v[96:99], v127 offset:32400
	v_fma_f64 v[185:186], v[143:144], v[0:1], -v[185:186]
	v_fma_f64 v[199:200], v[145:146], v[0:1], v[2:3]
	s_wait_loadcnt_dscnt 0xe05
	v_mul_f64_e32 v[0:1], v[173:174], v[50:51]
	v_mul_f64_e32 v[2:3], v[171:172], v[50:51]
	v_fma_f64 v[50:51], v[147:148], v[20:21], -v[187:188]
	v_fma_f64 v[22:23], v[149:150], v[20:21], v[22:23]
	s_wait_loadcnt_dscnt 0xd04
	v_mul_f64_e32 v[147:148], v[12:13], v[38:39]
	v_mul_f64_e32 v[149:150], v[10:11], v[38:39]
	ds_load_b128 v[18:21], v127 offset:58320
	v_fma_f64 v[151:152], v[151:152], v[16:17], -v[189:190]
	v_fma_f64 v[153:154], v[153:154], v[16:17], v[191:192]
	ds_load_b128 v[14:17], v127 offset:21600
	s_wait_loadcnt_dscnt 0xc05
	v_mul_f64_e32 v[187:188], v[106:107], v[30:31]
	v_mul_f64_e32 v[189:190], v[104:105], v[30:31]
	s_wait_loadcnt_dscnt 0xb04
	v_mul_f64_e32 v[191:192], v[8:9], v[58:59]
	v_mul_f64_e32 v[58:59], v[6:7], v[58:59]
	v_fma_f64 v[155:156], v[155:156], v[44:45], -v[193:194]
	v_fma_f64 v[159:160], v[159:160], v[40:41], -v[197:198]
	s_wait_loadcnt_dscnt 0xa02
	v_mul_f64_e32 v[193:194], v[98:99], v[54:55]
	v_mul_f64_e32 v[201:202], v[96:97], v[54:55]
	v_fma_f64 v[161:162], v[161:162], v[40:41], v[42:43]
	ds_load_b128 v[38:41], v127 offset:34560
	v_fma_f64 v[157:158], v[157:158], v[44:45], v[46:47]
	s_wait_loadcnt 0x9
	v_mul_f64_e32 v[197:198], v[102:103], v[82:83]
	v_mul_f64_e32 v[82:83], v[100:101], v[82:83]
	v_fma_f64 v[167:168], v[167:168], v[32:33], -v[4:5]
	v_fma_f64 v[169:170], v[169:170], v[32:33], v[34:35]
	ds_load_b128 v[30:33], v127 offset:47520
	ds_load_b128 v[42:45], v127 offset:60480
	s_wait_loadcnt_dscnt 0x804
	v_mul_f64_e32 v[4:5], v[20:21], v[78:79]
	v_fma_f64 v[171:172], v[171:172], v[48:49], -v[0:1]
	v_fma_f64 v[173:174], v[173:174], v[48:49], v[2:3]
	ds_load_b128 v[46:49], v127 offset:23760
	ds_load_b128 v[143:146], v127 offset:36720
	v_fma_f64 v[147:148], v[10:11], v[36:37], -v[147:148]
	v_fma_f64 v[149:150], v[12:13], v[36:37], v[149:150]
	v_mul_f64_e32 v[10:11], v[18:19], v[78:79]
	s_wait_loadcnt_dscnt 0x705
	v_mul_f64_e32 v[12:13], v[16:17], v[74:75]
	v_mul_f64_e32 v[74:75], v[14:15], v[74:75]
	ds_load_b128 v[34:37], v127 offset:49680
	v_fma_f64 v[2:3], v[104:105], v[28:29], -v[187:188]
	v_fma_f64 v[0:1], v[106:107], v[28:29], v[189:190]
	s_wait_loadcnt_dscnt 0x605
	v_mul_f64_e32 v[28:29], v[40:41], v[70:71]
	v_fma_f64 v[104:105], v[8:9], v[56:57], v[58:59]
	v_mul_f64_e32 v[70:71], v[38:39], v[70:71]
	s_wait_loadcnt_dscnt 0x504
	v_mul_f64_e32 v[8:9], v[32:33], v[66:67]
	v_mul_f64_e32 v[58:59], v[30:31], v[66:67]
	v_fma_f64 v[96:97], v[96:97], v[52:53], -v[193:194]
	v_fma_f64 v[98:99], v[98:99], v[52:53], v[201:202]
	s_wait_loadcnt_dscnt 0x403
	v_mul_f64_e32 v[52:53], v[44:45], v[62:63]
	v_mul_f64_e32 v[62:63], v[42:43], v[62:63]
	s_wait_loadcnt_dscnt 0x302
	v_mul_f64_e32 v[66:67], v[48:49], v[86:87]
	v_mul_f64_e32 v[86:87], v[46:47], v[86:87]
	v_fma_f64 v[106:107], v[100:101], v[80:81], -v[197:198]
	v_fma_f64 v[80:81], v[102:103], v[80:81], v[82:83]
	v_mad_i32_i24 v102, 0xffffff70, v117, v130
	v_mad_i32_i24 v103, 0xffffff70, v125, v128
	v_fma_f64 v[78:79], v[6:7], v[56:57], -v[191:192]
	ds_load_b128 v[54:57], v127 offset:62640
	s_wait_loadcnt_dscnt 0x202
	v_mul_f64_e32 v[82:83], v[145:146], v[90:91]
	v_mul_f64_e32 v[90:91], v[143:144], v[90:91]
	s_wait_loadcnt_dscnt 0x101
	v_mul_f64_e32 v[100:101], v[36:37], v[94:95]
	v_mul_f64_e32 v[94:95], v[34:35], v[94:95]
	v_add_f64_e64 v[193:194], v[153:154], -v[22:23]
	v_add_f64_e64 v[197:198], v[157:158], -v[161:162]
	v_fma_f64 v[4:5], v[18:19], v[76:77], -v[4:5]
	v_add_f64_e64 v[141:142], v[169:170], -v[173:174]
	v_add_f64_e32 v[201:202], v[171:172], v[147:148]
	v_add_f64_e64 v[205:206], v[173:174], -v[149:150]
	v_fma_f64 v[6:7], v[20:21], v[76:77], v[10:11]
	v_fma_f64 v[76:77], v[14:15], v[72:73], -v[12:13]
	v_fma_f64 v[72:73], v[16:17], v[72:73], v[74:75]
	ds_load_b128 v[14:17], v102
	ds_load_b128 v[18:21], v103
	v_add_f64_e32 v[74:75], v[175:176], v[185:186]
	s_wait_loadcnt_dscnt 0x2
	v_mul_f64_e32 v[215:216], v[56:57], v[26:27]
	v_fma_f64 v[187:188], v[38:39], v[68:69], -v[28:29]
	v_add_f64_e32 v[28:29], v[195:196], v[199:200]
	v_add_f64_e32 v[38:39], v[179:180], v[183:184]
	v_fma_f64 v[12:13], v[30:31], v[64:65], -v[8:9]
	v_add_f64_e32 v[30:31], v[177:178], v[181:182]
	v_fma_f64 v[70:71], v[40:41], v[68:69], v[70:71]
	v_fma_f64 v[189:190], v[32:33], v[64:65], v[58:59]
	v_fma_f64 v[8:9], v[42:43], v[60:61], -v[52:53]
	v_add_f64_e32 v[32:33], v[50:51], v[159:160]
	v_add_f64_e32 v[40:41], v[22:23], v[161:162]
	;; [unrolled: 1-line block ×4, first 2 shown]
	v_fma_f64 v[10:11], v[44:45], v[60:61], v[62:63]
	v_add_f64_e32 v[44:45], v[163:164], v[175:176]
	v_fma_f64 v[191:192], v[46:47], v[84:85], -v[66:67]
	v_add_f64_e32 v[46:47], v[165:166], v[195:196]
	v_fma_f64 v[84:85], v[48:49], v[84:85], v[86:87]
	s_wait_dscnt 0x1
	v_add_f64_e32 v[48:49], v[16:17], v[22:23]
	v_fma_f64 v[82:83], v[143:144], v[88:89], -v[82:83]
	v_fma_f64 v[86:87], v[145:146], v[88:89], v[90:91]
	v_fma_f64 v[88:89], v[34:35], v[92:93], -v[100:101]
	v_fma_f64 v[90:91], v[36:37], v[92:93], v[94:95]
	v_add_f64_e64 v[36:37], v[177:178], -v[175:176]
	v_add_f64_e64 v[60:61], v[179:180], -v[195:196]
	;; [unrolled: 1-line block ×14, first 2 shown]
	v_fma_f64 v[74:75], v[74:75], -0.5, v[163:164]
	v_add_f64_e32 v[34:35], v[14:15], v[50:51]
	v_add_f64_e32 v[219:220], v[96:97], v[106:107]
	v_fma_f64 v[28:29], v[28:29], -0.5, v[165:166]
	v_fma_f64 v[38:39], v[38:39], -0.5, v[165:166]
	v_add_f64_e64 v[165:166], v[151:152], -v[155:156]
	v_fma_f64 v[30:31], v[30:31], -0.5, v[163:164]
	v_add_f64_e64 v[163:164], v[153:154], -v[157:158]
	v_add_f64_e64 v[207:208], v[171:172], -v[147:148]
	s_wait_dscnt 0x0
	v_add_f64_e32 v[217:218], v[20:21], v[169:170]
	v_fma_f64 v[32:33], v[32:33], -0.5, v[14:15]
	v_fma_f64 v[40:41], v[40:41], -0.5, v[16:17]
	v_fma_f64 v[14:15], v[42:43], -0.5, v[14:15]
	v_fma_f64 v[16:17], v[52:53], -0.5, v[16:17]
	v_add_f64_e64 v[42:43], v[50:51], -v[151:152]
	v_add_f64_e64 v[52:53], v[159:160], -v[155:156]
	v_add_f64_e32 v[44:45], v[44:45], v[177:178]
	v_add_f64_e64 v[177:178], v[22:23], -v[153:154]
	v_add_f64_e64 v[22:23], v[22:23], -v[161:162]
	v_add_f64_e32 v[46:47], v[46:47], v[179:180]
	;; [unrolled: 3-line block ×3, first 2 shown]
	v_add_f64_e32 v[153:154], v[173:174], v[149:150]
	v_add_f64_e32 v[68:69], v[68:69], v[94:95]
	;; [unrolled: 1-line block ×5, first 2 shown]
	v_fma_f64 v[197:198], v[201:202], -0.5, v[18:19]
	v_add_f64_e32 v[36:37], v[36:37], v[58:59]
	v_add_f64_e32 v[58:59], v[60:61], v[62:63]
	v_fma_f64 v[60:61], v[64:65], s[12:13], v[74:75]
	v_fma_f64 v[62:63], v[64:65], s[10:11], v[74:75]
	v_add_f64_e32 v[34:35], v[34:35], v[151:152]
	v_fma_f64 v[94:95], v[66:67], s[10:11], v[28:29]
	v_fma_f64 v[28:29], v[66:67], s[12:13], v[28:29]
	;; [unrolled: 1-line block ×6, first 2 shown]
	v_add_f64_e64 v[151:152], v[169:170], -v[0:1]
	v_fma_f64 v[201:202], v[163:164], s[12:13], v[32:33]
	v_fma_f64 v[32:33], v[163:164], s[10:11], v[32:33]
	v_add_f64_e64 v[74:75], v[167:168], -v[2:3]
	v_add_f64_e32 v[203:204], v[42:43], v[52:53]
	v_fma_f64 v[42:43], v[165:166], s[10:11], v[40:41]
	v_fma_f64 v[40:41], v[165:166], s[12:13], v[40:41]
	;; [unrolled: 1-line block ×4, first 2 shown]
	v_add_f64_e32 v[177:178], v[177:178], v[179:180]
	v_fma_f64 v[179:180], v[50:51], s[12:13], v[16:17]
	v_add_f64_e32 v[44:45], v[44:45], v[181:182]
	v_fma_f64 v[153:154], v[153:154], -0.5, v[20:21]
	v_fma_f64 v[16:17], v[50:51], s[10:11], v[16:17]
	v_add_f64_e32 v[46:47], v[46:47], v[183:184]
	v_add_f64_e32 v[48:49], v[48:49], v[157:158]
	v_add_f64_e64 v[157:158], v[167:168], -v[171:172]
	v_add_f64_e64 v[183:184], v[2:3], -v[147:148]
	v_add_f64_e32 v[181:182], v[167:168], v[2:3]
	v_fma_f64 v[60:61], v[195:196], s[2:3], v[60:61]
	v_fma_f64 v[62:63], v[195:196], s[6:7], v[62:63]
	v_add_f64_e32 v[34:35], v[34:35], v[155:156]
	v_fma_f64 v[94:95], v[175:176], s[6:7], v[94:95]
	v_fma_f64 v[139:140], v[175:176], s[2:3], v[28:29]
	;; [unrolled: 1-line block ×4, first 2 shown]
	v_add_f64_e32 v[155:156], v[169:170], v[0:1]
	v_fma_f64 v[64:65], v[64:65], s[6:7], v[30:31]
	v_fma_f64 v[66:67], v[66:67], s[2:3], v[38:39]
	v_add_f64_e64 v[195:196], v[0:1], -v[149:150]
	v_fma_f64 v[201:202], v[22:23], s[2:3], v[201:202]
	v_fma_f64 v[22:23], v[22:23], s[6:7], v[32:33]
	v_lshl_add_u32 v101, v123, 4, 0
	v_lshl_add_u32 v100, v122, 4, 0
	v_fma_f64 v[209:210], v[50:51], s[6:7], v[42:43]
	v_fma_f64 v[211:212], v[50:51], s[2:3], v[40:41]
	;; [unrolled: 1-line block ×6, first 2 shown]
	v_add_f64_e32 v[14:15], v[44:45], v[185:186]
	v_fma_f64 v[52:53], v[74:75], s[12:13], v[153:154]
	v_mul_f64_e32 v[185:186], v[54:55], v[26:27]
	v_fma_f64 v[165:166], v[165:166], s[2:3], v[16:17]
	v_fma_f64 v[153:154], v[74:75], s[10:11], v[153:154]
	;; [unrolled: 1-line block ×3, first 2 shown]
	v_add_f64_e32 v[157:158], v[157:158], v[183:184]
	v_add_f64_e32 v[183:184], v[98:99], v[80:81]
	;; [unrolled: 1-line block ×4, first 2 shown]
	v_fma_f64 v[181:182], v[181:182], -0.5, v[18:19]
	v_fma_f64 v[26:27], v[36:37], s[0:1], v[60:61]
	v_fma_f64 v[30:31], v[36:37], s[0:1], v[62:63]
	v_add_f64_e32 v[18:19], v[34:35], v[159:160]
	v_fma_f64 v[28:29], v[58:59], s[0:1], v[94:95]
	v_fma_f64 v[32:33], v[58:59], s[0:1], v[139:140]
	;; [unrolled: 1-line block ×4, first 2 shown]
	v_fma_f64 v[155:156], v[155:156], -0.5, v[20:21]
	v_add_f64_e32 v[20:21], v[48:49], v[161:162]
	v_fma_f64 v[46:47], v[68:69], s[0:1], v[64:65]
	v_fma_f64 v[48:49], v[92:93], s[0:1], v[66:67]
	v_add_f64_e32 v[94:95], v[141:142], v[195:196]
	v_fma_f64 v[58:59], v[143:144], s[0:1], v[22:23]
	v_add_f64_e32 v[139:140], v[78:79], v[4:5]
	v_add_f64_e64 v[161:162], v[171:172], -v[167:168]
	ds_load_b128 v[34:37], v101
	ds_load_b128 v[38:41], v100
	global_wb scope:SCOPE_SE
	s_wait_dscnt 0x0
	v_fma_f64 v[60:61], v[145:146], s[0:1], v[211:212]
	v_fma_f64 v[141:142], v[205:206], s[2:3], v[50:51]
	;; [unrolled: 1-line block ×4, first 2 shown]
	v_fma_f64 v[143:144], v[54:55], v[24:25], -v[215:216]
	v_add_f64_e64 v[54:55], v[104:105], -v[6:7]
	v_fma_f64 v[163:164], v[219:220], -0.5, v[108:109]
	v_fma_f64 v[62:63], v[203:204], s[0:1], v[213:214]
	v_fma_f64 v[64:65], v[177:178], s[0:1], v[179:180]
	;; [unrolled: 1-line block ×6, first 2 shown]
	v_add_f64_e32 v[179:180], v[104:105], v[6:7]
	v_fma_f64 v[153:154], v[207:208], s[2:3], v[153:154]
	v_add_f64_e32 v[185:186], v[110:111], v[104:105]
	v_add_f64_e64 v[56:57], v[78:79], -v[4:5]
	v_fma_f64 v[167:168], v[183:184], -0.5, v[110:111]
	s_barrier_signal -1
	s_barrier_wait -1
	global_inv scope:SCOPE_SE
	v_fma_f64 v[92:93], v[205:206], s[6:7], v[197:198]
	v_add_f64_e64 v[165:166], v[173:174], -v[169:170]
	v_add_f64_e64 v[169:170], v[147:148], -v[2:3]
	v_add_f64_e32 v[171:172], v[199:200], v[171:172]
	v_add_f64_e32 v[173:174], v[217:218], v[173:174]
	v_add_f64_e32 v[193:194], v[187:188], v[12:13]
	v_add_f64_e32 v[195:196], v[70:71], v[189:190]
	v_add_f64_e32 v[197:198], v[76:77], v[8:9]
	ds_store_b128 v221, v[14:17]
	ds_store_b128 v221, v[42:45] offset:160
	ds_store_b128 v221, v[26:29] offset:320
	;; [unrolled: 1-line block ×4, first 2 shown]
	ds_store_b128 v222, v[18:21]
	ds_store_b128 v222, v[62:65] offset:160
	ds_store_b128 v222, v[50:53] offset:320
	;; [unrolled: 1-line block ×4, first 2 shown]
	v_add_f64_e32 v[26:27], v[72:73], v[10:11]
	v_add_f64_e32 v[183:184], v[108:109], v[78:79]
	v_add_f64_e64 v[175:176], v[149:150], -v[0:1]
	v_add_f64_e64 v[177:178], v[98:99], -v[80:81]
	v_fma_f64 v[199:200], v[207:208], s[10:11], v[155:156]
	v_fma_f64 v[155:156], v[207:208], s[12:13], v[155:156]
	v_add_f64_e64 v[18:19], v[78:79], -v[96:97]
	v_add_f64_e64 v[20:21], v[4:5], -v[106:107]
	v_fma_f64 v[32:33], v[54:55], s[10:11], v[163:164]
	v_add_f64_e32 v[42:43], v[82:83], v[88:89]
	v_add_f64_e32 v[58:59], v[191:192], v[143:144]
	v_add_f64_e64 v[28:29], v[104:105], -v[98:99]
	v_add_f64_e64 v[30:31], v[6:7], -v[80:81]
	v_add_f64_e32 v[46:47], v[86:87], v[90:91]
	v_add_f64_e32 v[68:69], v[84:85], v[145:146]
	v_fma_f64 v[108:109], v[139:140], -0.5, v[108:109]
	v_fma_f64 v[24:25], v[94:95], s[0:1], v[159:160]
	v_add_f64_e64 v[48:49], v[96:97], -v[106:107]
	v_fma_f64 v[16:17], v[94:95], s[0:1], v[153:154]
	v_add_f64_e32 v[94:95], v[185:186], v[98:99]
	v_fma_f64 v[110:111], v[179:180], -0.5, v[110:111]
	v_fma_f64 v[44:45], v[56:57], s[12:13], v[167:168]
	v_fma_f64 v[52:53], v[56:57], s[10:11], v[167:168]
	;; [unrolled: 1-line block ×7, first 2 shown]
	v_add_f64_e32 v[60:61], v[171:172], v[147:148]
	v_add_f64_e32 v[64:65], v[173:174], v[149:150]
	;; [unrolled: 1-line block ×3, first 2 shown]
	v_fma_f64 v[147:148], v[193:194], -0.5, v[34:35]
	v_add_f64_e64 v[149:150], v[72:73], -v[10:11]
	v_fma_f64 v[153:154], v[195:196], -0.5, v[36:37]
	v_add_f64_e64 v[157:158], v[76:77], -v[8:9]
	v_add_f64_e32 v[159:160], v[34:35], v[76:77]
	v_add_f64_e64 v[161:162], v[70:71], -v[189:190]
	v_fma_f64 v[34:35], v[197:198], -0.5, v[34:35]
	v_add_f64_e32 v[163:164], v[36:37], v[72:73]
	v_add_f64_e64 v[167:168], v[187:188], -v[12:13]
	v_fma_f64 v[26:27], v[26:27], -0.5, v[36:37]
	v_add_f64_e32 v[62:63], v[183:184], v[96:97]
	v_add_f64_e32 v[92:93], v[165:166], v[175:176]
	v_fma_f64 v[165:166], v[74:75], s[6:7], v[199:200]
	v_fma_f64 v[36:37], v[74:75], s[2:3], v[155:156]
	v_add_f64_e32 v[74:75], v[18:19], v[20:21]
	v_add_f64_e64 v[20:21], v[84:85], -v[145:146]
	v_fma_f64 v[18:19], v[42:43], -0.5, v[38:39]
	v_fma_f64 v[42:43], v[177:178], s[2:3], v[32:33]
	v_add_f64_e32 v[32:33], v[38:39], v[191:192]
	v_fma_f64 v[38:39], v[58:59], -0.5, v[38:39]
	v_add_f64_e32 v[58:59], v[40:41], v[84:85]
	v_add_f64_e32 v[155:156], v[28:29], v[30:31]
	v_fma_f64 v[28:29], v[46:47], -0.5, v[40:41]
	v_add_f64_e64 v[30:31], v[191:192], -v[143:144]
	v_add_f64_e64 v[46:47], v[86:87], -v[90:91]
	;; [unrolled: 1-line block ×3, first 2 shown]
	v_fma_f64 v[40:41], v[68:69], -0.5, v[40:41]
	v_add_f64_e64 v[78:79], v[96:97], -v[78:79]
	v_fma_f64 v[96:97], v[177:178], s[12:13], v[108:109]
	v_add_f64_e64 v[141:142], v[106:107], -v[4:5]
	v_add_f64_e64 v[98:99], v[98:99], -v[104:105]
	;; [unrolled: 1-line block ×3, first 2 shown]
	v_add_f64_e32 v[68:69], v[94:95], v[80:81]
	v_fma_f64 v[80:81], v[48:49], s[10:11], v[110:111]
	v_fma_f64 v[108:109], v[177:178], s[10:11], v[108:109]
	;; [unrolled: 1-line block ×8, first 2 shown]
	v_add_f64_e64 v[94:95], v[76:77], -v[187:188]
	v_add_f64_e64 v[110:111], v[72:73], -v[70:71]
	;; [unrolled: 1-line block ×3, first 2 shown]
	v_fma_f64 v[173:174], v[149:150], s[10:11], v[147:148]
	v_fma_f64 v[175:176], v[157:158], s[12:13], v[153:154]
	;; [unrolled: 1-line block ×4, first 2 shown]
	v_add_f64_e32 v[159:160], v[159:160], v[187:188]
	v_add_f64_e64 v[76:77], v[187:188], -v[76:77]
	v_fma_f64 v[177:178], v[161:162], s[12:13], v[34:35]
	v_add_f64_e32 v[163:164], v[163:164], v[70:71]
	v_add_f64_e64 v[179:180], v[12:13], -v[8:9]
	v_add_f64_e64 v[70:71], v[70:71], -v[72:73]
	v_add_f64_e64 v[72:73], v[189:190], -v[10:11]
	v_fma_f64 v[181:182], v[167:168], s[10:11], v[26:27]
	v_add_f64_e32 v[62:63], v[62:63], v[106:107]
	v_add_f64_e64 v[106:107], v[8:9], -v[12:13]
	v_fma_f64 v[34:35], v[161:162], s[10:11], v[34:35]
	v_fma_f64 v[26:27], v[167:168], s[12:13], v[26:27]
	v_add_f64_e32 v[32:33], v[32:33], v[82:83]
	v_add_f64_e32 v[58:59], v[58:59], v[86:87]
	v_add_f64_e64 v[183:184], v[191:192], -v[82:83]
	v_add_f64_e64 v[185:186], v[143:144], -v[88:89]
	;; [unrolled: 1-line block ×4, first 2 shown]
	v_fma_f64 v[195:196], v[20:21], s[10:11], v[18:19]
	v_fma_f64 v[197:198], v[30:31], s[12:13], v[28:29]
	v_add_f64_e64 v[82:83], v[82:83], -v[191:192]
	v_fma_f64 v[191:192], v[46:47], s[12:13], v[38:39]
	v_add_f64_e64 v[199:200], v[88:89], -v[143:144]
	v_add_f64_e64 v[84:85], v[86:87], -v[84:85]
	;; [unrolled: 1-line block ×3, first 2 shown]
	v_fma_f64 v[201:202], v[169:170], s[10:11], v[40:41]
	v_fma_f64 v[18:19], v[20:21], s[12:13], v[18:19]
	;; [unrolled: 1-line block ×5, first 2 shown]
	v_add_f64_e32 v[78:79], v[78:79], v[141:142]
	v_fma_f64 v[96:97], v[54:55], s[2:3], v[96:97]
	v_add_f64_e32 v[98:99], v[98:99], v[104:105]
	v_fma_f64 v[80:81], v[56:57], s[6:7], v[80:81]
	v_fma_f64 v[54:55], v[54:55], s[6:7], v[108:109]
	;; [unrolled: 1-line block ×3, first 2 shown]
	v_add_f64_e32 v[104:105], v[110:111], v[171:172]
	v_fma_f64 v[110:111], v[161:162], s[6:7], v[147:148]
	v_fma_f64 v[141:142], v[167:168], s[2:3], v[153:154]
	v_add_f64_e32 v[12:13], v[159:160], v[12:13]
	v_fma_f64 v[153:154], v[149:150], s[2:3], v[177:178]
	v_add_f64_e32 v[147:148], v[163:164], v[189:190]
	v_add_f64_e32 v[76:77], v[76:77], v[179:180]
	v_fma_f64 v[108:109], v[167:168], s[6:7], v[175:176]
	v_add_f64_e32 v[72:73], v[70:71], v[72:73]
	v_fma_f64 v[70:71], v[157:158], s[6:7], v[181:182]
	;; [unrolled: 2-line block ×3, first 2 shown]
	v_fma_f64 v[149:150], v[149:150], s[6:7], v[34:35]
	v_fma_f64 v[157:158], v[157:158], s[2:3], v[26:27]
	v_add_f64_e32 v[88:89], v[32:33], v[88:89]
	v_add_f64_e32 v[90:91], v[58:59], v[90:91]
	;; [unrolled: 1-line block ×3, first 2 shown]
	v_fma_f64 v[32:33], v[92:93], s[0:1], v[36:37]
	v_add_f64_e32 v[161:162], v[187:188], v[193:194]
	v_fma_f64 v[163:164], v[46:47], s[2:3], v[195:196]
	v_fma_f64 v[167:168], v[169:170], s[6:7], v[197:198]
	;; [unrolled: 1-line block ×4, first 2 shown]
	v_add_f64_e32 v[82:83], v[82:83], v[199:200]
	v_fma_f64 v[36:37], v[155:156], s[0:1], v[44:45]
	v_add_f64_e32 v[84:85], v[84:85], v[86:87]
	v_fma_f64 v[86:87], v[30:31], s[6:7], v[201:202]
	v_fma_f64 v[171:172], v[46:47], s[6:7], v[18:19]
	;; [unrolled: 1-line block ×3, first 2 shown]
	v_add_f64_e32 v[18:19], v[60:61], v[2:3]
	v_fma_f64 v[2:3], v[30:31], s[2:3], v[40:41]
	v_fma_f64 v[169:170], v[169:170], s[2:3], v[28:29]
	v_add_f64_e32 v[20:21], v[64:65], v[0:1]
	v_fma_f64 v[38:39], v[74:75], s[0:1], v[50:51]
	v_fma_f64 v[40:41], v[155:156], s[0:1], v[52:53]
	v_add_f64_e32 v[42:43], v[62:63], v[4:5]
	v_add_f64_e32 v[44:45], v[68:69], v[6:7]
	v_fma_f64 v[46:47], v[78:79], s[0:1], v[96:97]
	v_fma_f64 v[48:49], v[98:99], s[0:1], v[80:81]
	;; [unrolled: 1-line block ×7, first 2 shown]
	v_add_f64_e32 v[62:63], v[12:13], v[8:9]
	v_add_f64_e32 v[64:65], v[147:148], v[10:11]
	v_fma_f64 v[66:67], v[76:77], s[0:1], v[153:154]
	v_fma_f64 v[68:69], v[72:73], s[0:1], v[70:71]
	;; [unrolled: 1-line block ×8, first 2 shown]
	v_add_f64_e32 v[8:9], v[88:89], v[143:144]
	v_add_f64_e32 v[10:11], v[90:91], v[145:146]
	v_mul_u32_u24_e32 v12, 0x320, v135
	v_fma_f64 v[4:5], v[159:160], s[0:1], v[163:164]
	v_fma_f64 v[6:7], v[161:162], s[0:1], v[167:168]
	v_lshlrev_b32_e32 v13, 4, v138
	s_mov_b32 s2, 0xe8584caa
	v_fma_f64 v[74:75], v[82:83], s[0:1], v[173:174]
	s_mov_b32 s3, 0x3febb67a
	s_mov_b32 s7, 0xbfebb67a
	v_fma_f64 v[76:77], v[84:85], s[0:1], v[86:87]
	v_fma_f64 v[0:1], v[159:160], s[0:1], v[171:172]
	v_fma_f64 v[78:79], v[82:83], s[0:1], v[175:176]
	v_add3_u32 v12, 0, v12, v13
	v_fma_f64 v[80:81], v[84:85], s[0:1], v[2:3]
	v_fma_f64 v[2:3], v[161:162], s[0:1], v[169:170]
	v_mul_u32_u24_e32 v13, 0x320, v136
	v_lshlrev_b32_e32 v82, 4, v137
	ds_store_b128 v12, v[18:21]
	ds_store_b128 v12, v[22:25] offset:160
	ds_store_b128 v12, v[26:29] offset:320
	;; [unrolled: 1-line block ×3, first 2 shown]
	v_add3_u32 v13, 0, v13, v82
	ds_store_b128 v12, v[14:17] offset:640
	v_mul_lo_u16 v12, v118, 41
	v_mul_u32_u24_e32 v14, 0x320, v126
	v_lshlrev_b32_e32 v15, 4, v133
	ds_store_b128 v13, v[42:45]
	ds_store_b128 v13, v[34:37] offset:160
	ds_store_b128 v13, v[46:49] offset:320
	;; [unrolled: 1-line block ×4, first 2 shown]
	v_lshrrev_b16 v13, 1, v117
	v_lshrrev_b16 v89, 11, v12
	v_add3_u32 v12, 0, v14, v15
	v_mul_u32_u24_e32 v14, 0x320, v132
	v_lshlrev_b32_e32 v16, 4, v134
	v_and_b32_e32 v13, 0xffff, v13
	ds_store_b128 v12, v[62:65]
	ds_store_b128 v12, v[54:57] offset:160
	ds_store_b128 v12, v[66:69] offset:320
	ds_store_b128 v12, v[70:73] offset:480
	ds_store_b128 v12, v[58:61] offset:640
	v_add3_u32 v14, 0, v14, v16
	v_mul_u32_u24_e32 v12, 0x147b, v13
	v_lshrrev_b16 v13, 1, v125
	ds_store_b128 v14, v[8:11]
	ds_store_b128 v14, v[4:7] offset:160
	ds_store_b128 v14, v[74:77] offset:320
	;; [unrolled: 1-line block ×3, first 2 shown]
	v_lshrrev_b32_e32 v93, 17, v12
	v_and_b32_e32 v80, 0xffff, v13
	v_mul_lo_u16 v15, v89, 50
	ds_store_b128 v14, v[0:3] offset:640
	v_lshrrev_b16 v3, 1, v124
	v_mul_lo_u16 v1, v93, 50
	v_mul_u32_u24_e32 v2, 0x147b, v80
	v_sub_nc_u16 v15, v112, v15
	global_wb scope:SCOPE_SE
	s_wait_dscnt 0x0
	v_and_b32_e32 v81, 0xffff, v3
	v_sub_nc_u16 v1, v117, v1
	v_lshrrev_b32_e32 v98, 17, v2
	v_and_b32_e32 v90, 0xff, v15
	s_barrier_signal -1
	v_mul_u32_u24_e32 v2, 0x147b, v81
	v_and_b32_e32 v99, 0xffff, v1
	v_mul_lo_u16 v1, v98, 50
	v_lshlrev_b32_e32 v0, 5, v90
	s_barrier_wait -1
	v_lshrrev_b32_e32 v108, 17, v2
	global_inv scope:SCOPE_SE
	v_sub_nc_u16 v1, v125, v1
	s_clause 0x1
	global_load_b128 v[20:23], v0, s[4:5] offset:640
	global_load_b128 v[16:19], v0, s[4:5] offset:656
	v_lshlrev_b32_e32 v0, 5, v99
	v_lshrrev_b16 v2, 1, v123
	v_and_b32_e32 v109, 0xffff, v1
	v_mul_lo_u16 v1, v108, 50
	v_lshrrev_b16 v6, 1, v122
	s_clause 0x1
	global_load_b128 v[32:35], v0, s[4:5] offset:640
	global_load_b128 v[24:27], v0, s[4:5] offset:656
	v_and_b32_e32 v82, 0xffff, v2
	v_sub_nc_u16 v5, v124, v1
	v_lshlrev_b32_e32 v4, 5, v109
	v_and_b32_e32 v83, 0xffff, v6
	v_and_b32_e32 v89, 0xffff, v89
	v_mul_u32_u24_e32 v8, 0x147b, v82
	v_and_b32_e32 v132, 0xffff, v5
	global_load_b128 v[0:3], v4, s[4:5] offset:640
	v_mul_u32_u24_e32 v10, 0x147b, v83
	v_mul_u32_u24_e32 v89, 0x960, v89
	v_lshrrev_b32_e32 v88, 17, v8
	v_lshlrev_b32_e32 v9, 5, v132
	v_lshrrev_b16 v8, 1, v121
	v_lshrrev_b32_e32 v92, 17, v10
	v_mul_u32_u24_e32 v215, 0x960, v98
	v_mul_lo_u16 v11, v88, 50
	s_clause 0x1
	global_load_b128 v[12:15], v9, s[4:5] offset:640
	global_load_b128 v[4:7], v4, s[4:5] offset:656
	v_and_b32_e32 v84, 0xffff, v8
	v_mul_lo_u16 v29, v92, 50
	v_sub_nc_u16 v8, v123, v11
	v_lshlrev_b32_e32 v218, 4, v99
	s_wait_alu 0xfffe
	s_mov_b32 s6, s2
	v_mul_u32_u24_e32 v28, 0x147b, v84
	v_mul_u32_u24_e32 v216, 0x960, v108
	v_and_b32_e32 v94, 0xffff, v8
	global_load_b128 v[8:11], v9, s[4:5] offset:656
	v_mul_u32_u24_e32 v93, 0x960, v93
	v_lshrrev_b32_e32 v91, 17, v28
	v_sub_nc_u16 v28, v122, v29
	v_lshrrev_b16 v29, 1, v120
	v_lshlrev_b32_e32 v30, 5, v94
	v_lshl_add_u32 v106, v120, 4, 0
	v_mul_lo_u16 v31, v91, 50
	v_and_b32_e32 v107, 0xffff, v28
	v_and_b32_e32 v85, 0xffff, v29
	s_clause 0x1
	global_load_b128 v[40:43], v30, s[4:5] offset:640
	global_load_b128 v[48:51], v30, s[4:5] offset:656
	v_sub_nc_u16 v28, v121, v31
	v_lshlrev_b32_e32 v29, 5, v107
	v_mul_u32_u24_e32 v31, 0x147b, v85
	v_add3_u32 v93, 0, v93, v218
	v_lshlrev_b32_e32 v132, 4, v132
	v_and_b32_e32 v97, 0xffff, v28
	s_clause 0x1
	global_load_b128 v[44:47], v29, s[4:5] offset:640
	global_load_b128 v[36:39], v29, s[4:5] offset:656
	v_lshrrev_b32_e32 v95, 17, v31
	v_cmp_gt_u32_e64 s0, 15, v112
	v_lshlrev_b32_e32 v52, 5, v97
	s_mov_b32 s1, exec_lo
	s_delay_alu instid0(VALU_DEP_3) | instskip(SKIP_4) | instid1(VALU_DEP_1)
	v_mul_lo_u16 v53, v95, 50
	s_clause 0x1
	global_load_b128 v[28:31], v52, s[4:5] offset:640
	global_load_b128 v[56:59], v52, s[4:5] offset:656
	v_sub_nc_u16 v53, v120, v53
	v_and_b32_e32 v96, 0xffff, v53
	v_lshrrev_b16 v53, 1, v119
	s_delay_alu instid0(VALU_DEP_2) | instskip(NEXT) | instid1(VALU_DEP_2)
	v_lshlrev_b32_e32 v52, 5, v96
	v_and_b32_e32 v86, 0xffff, v53
	v_lshrrev_b16 v53, 1, v116
	s_clause 0x1
	global_load_b128 v[72:75], v52, s[4:5] offset:640
	global_load_b128 v[76:79], v52, s[4:5] offset:656
	v_mul_u32_u24_e32 v54, 0x147b, v86
	v_and_b32_e32 v87, 0xffff, v53
	s_delay_alu instid0(VALU_DEP_2) | instskip(NEXT) | instid1(VALU_DEP_2)
	v_lshrrev_b32_e32 v118, 17, v54
	v_mul_u32_u24_e32 v52, 0x147b, v87
	s_delay_alu instid0(VALU_DEP_2) | instskip(NEXT) | instid1(VALU_DEP_2)
	v_mul_lo_u16 v53, v118, 50
	v_lshrrev_b32_e32 v110, 17, v52
	s_delay_alu instid0(VALU_DEP_2) | instskip(NEXT) | instid1(VALU_DEP_2)
	v_sub_nc_u16 v52, v119, v53
	v_mul_lo_u16 v53, v110, 50
	s_delay_alu instid0(VALU_DEP_2) | instskip(NEXT) | instid1(VALU_DEP_2)
	v_and_b32_e32 v126, 0xffff, v52
	v_sub_nc_u16 v52, v116, v53
	s_delay_alu instid0(VALU_DEP_2) | instskip(NEXT) | instid1(VALU_DEP_2)
	v_lshlrev_b32_e32 v53, 5, v126
	v_and_b32_e32 v111, 0xffff, v52
	global_load_b128 v[68:71], v53, s[4:5] offset:640
	v_lshlrev_b32_e32 v60, 5, v111
	s_clause 0x2
	global_load_b128 v[64:67], v53, s[4:5] offset:656
	global_load_b128 v[52:55], v60, s[4:5] offset:640
	;; [unrolled: 1-line block ×3, first 2 shown]
	ds_load_b128 v[133:136], v127 offset:21600
	ds_load_b128 v[137:140], v127 offset:43200
	;; [unrolled: 1-line block ×4, first 2 shown]
	ds_load_b128 v[149:152], v127
	ds_load_b128 v[153:156], v127 offset:25920
	ds_load_b128 v[173:176], v127 offset:51840
	;; [unrolled: 1-line block ×6, first 2 shown]
	s_wait_loadcnt_dscnt 0x130a
	v_mul_f64_e32 v[104:105], v[135:136], v[22:23]
	v_mul_f64_e32 v[22:23], v[133:134], v[22:23]
	s_wait_loadcnt_dscnt 0x1209
	v_mul_f64_e32 v[177:178], v[139:140], v[18:19]
	v_mul_f64_e32 v[179:180], v[137:138], v[18:19]
	s_wait_loadcnt_dscnt 0x1108
	v_mul_f64_e32 v[181:182], v[143:144], v[34:35]
	s_wait_loadcnt_dscnt 0x1007
	v_mul_f64_e32 v[183:184], v[147:148], v[26:27]
	v_mul_f64_e32 v[26:27], v[145:146], v[26:27]
	;; [unrolled: 1-line block ×3, first 2 shown]
	s_wait_loadcnt_dscnt 0xf05
	v_mul_f64_e32 v[185:186], v[155:156], v[2:3]
	v_mul_f64_e32 v[2:3], v[153:154], v[2:3]
	s_wait_loadcnt_dscnt 0xe01
	v_mul_f64_e32 v[189:190], v[163:164], v[14:15]
	s_wait_loadcnt 0xd
	v_mul_f64_e32 v[187:188], v[159:160], v[6:7]
	v_mul_f64_e32 v[6:7], v[157:158], v[6:7]
	;; [unrolled: 1-line block ×3, first 2 shown]
	v_fma_f64 v[193:194], v[133:134], v[20:21], -v[104:105]
	v_fma_f64 v[195:196], v[135:136], v[20:21], v[22:23]
	ds_load_b128 v[18:21], v127 offset:32400
	ds_load_b128 v[133:136], v127 offset:54000
	s_wait_loadcnt 0xc
	v_mul_f64_e32 v[104:105], v[167:168], v[10:11]
	v_fma_f64 v[137:138], v[137:138], v[16:17], -v[177:178]
	v_fma_f64 v[139:140], v[139:140], v[16:17], v[179:180]
	v_mul_f64_e32 v[10:11], v[165:166], v[10:11]
	ds_load_b128 v[14:17], v127 offset:34560
	s_wait_loadcnt_dscnt 0xb03
	v_mul_f64_e32 v[177:178], v[171:172], v[42:43]
	v_mul_f64_e32 v[42:43], v[169:170], v[42:43]
	v_fma_f64 v[147:148], v[147:148], v[24:25], v[26:27]
	s_wait_loadcnt 0xa
	v_mul_f64_e32 v[26:27], v[175:176], v[50:51]
	v_mul_f64_e32 v[50:51], v[173:174], v[50:51]
	v_fma_f64 v[141:142], v[141:142], v[32:33], -v[181:182]
	v_fma_f64 v[143:144], v[143:144], v[32:33], v[34:35]
	v_fma_f64 v[145:146], v[145:146], v[24:25], -v[183:184]
	v_fma_f64 v[153:154], v[153:154], v[0:1], -v[185:186]
	v_fma_f64 v[155:156], v[155:156], v[0:1], v[2:3]
	ds_load_b128 v[0:3], v127 offset:36720
	ds_load_b128 v[32:35], v127 offset:56160
	ds_load_b128 v[22:25], v129
	s_wait_loadcnt_dscnt 0x905
	v_mul_f64_e32 v[179:180], v[20:21], v[46:47]
	v_mul_f64_e32 v[181:182], v[18:19], v[46:47]
	s_wait_loadcnt_dscnt 0x804
	v_mul_f64_e32 v[183:184], v[135:136], v[38:39]
	v_mul_f64_e32 v[185:186], v[133:134], v[38:39]
	v_fma_f64 v[161:162], v[161:162], v[12:13], -v[189:190]
	v_fma_f64 v[157:158], v[157:158], v[4:5], -v[187:188]
	v_fma_f64 v[159:160], v[159:160], v[4:5], v[6:7]
	ds_load_b128 v[4:7], v127 offset:58320
	s_wait_loadcnt_dscnt 0x704
	v_mul_f64_e32 v[187:188], v[16:17], v[30:31]
	v_mul_f64_e32 v[30:31], v[14:15], v[30:31]
	v_fma_f64 v[163:164], v[163:164], v[12:13], v[191:192]
	s_wait_loadcnt_dscnt 0x602
	v_mul_f64_e32 v[189:190], v[34:35], v[58:59]
	v_mul_f64_e32 v[58:59], v[32:33], v[58:59]
	v_fma_f64 v[165:166], v[165:166], v[8:9], -v[104:105]
	s_wait_loadcnt 0x5
	v_mul_f64_e32 v[191:192], v[2:3], v[74:75]
	v_mul_f64_e32 v[74:75], v[0:1], v[74:75]
	v_fma_f64 v[167:168], v[167:168], v[8:9], v[10:11]
	v_lshl_add_u32 v105, v119, 4, 0
	v_fma_f64 v[169:170], v[169:170], v[40:41], -v[177:178]
	v_fma_f64 v[171:172], v[171:172], v[40:41], v[42:43]
	s_wait_loadcnt_dscnt 0x400
	v_mul_f64_e32 v[197:198], v[6:7], v[78:79]
	v_mul_f64_e32 v[78:79], v[4:5], v[78:79]
	v_fma_f64 v[175:176], v[175:176], v[48:49], v[50:51]
	v_add_f64_e32 v[42:43], v[193:194], v[137:138]
	v_add_f64_e32 v[50:51], v[195:196], v[139:140]
	ds_load_b128 v[8:11], v127 offset:38880
	ds_load_b128 v[38:41], v127 offset:41040
	v_fma_f64 v[173:174], v[173:174], v[48:49], -v[26:27]
	ds_load_b128 v[46:49], v127 offset:60480
	v_lshl_add_u32 v104, v116, 4, 0
	v_fma_f64 v[177:178], v[18:19], v[44:45], -v[179:180]
	v_fma_f64 v[179:180], v[20:21], v[44:45], v[181:182]
	v_add_f64_e32 v[44:45], v[141:142], v[145:146]
	v_add_f64_e32 v[181:182], v[143:144], v[147:148]
	v_fma_f64 v[133:134], v[133:134], v[36:37], -v[183:184]
	v_fma_f64 v[135:136], v[135:136], v[36:37], v[185:186]
	v_add_f64_e32 v[36:37], v[153:154], v[157:158]
	v_add_f64_e32 v[185:186], v[155:156], v[159:160]
	ds_load_b128 v[18:21], v127 offset:62640
	v_fma_f64 v[183:184], v[14:15], v[28:29], -v[187:188]
	ds_load_b128 v[12:15], v102
	v_fma_f64 v[187:188], v[16:17], v[28:29], v[30:31]
	ds_load_b128 v[26:29], v103
	s_wait_loadcnt_dscnt 0x305
	v_mul_f64_e32 v[16:17], v[10:11], v[70:71]
	v_mul_f64_e32 v[30:31], v[8:9], v[70:71]
	v_fma_f64 v[189:190], v[32:33], v[56:57], -v[189:190]
	v_fma_f64 v[199:200], v[34:35], v[56:57], v[58:59]
	s_wait_loadcnt_dscnt 0x203
	v_mul_f64_e32 v[32:33], v[48:49], v[66:67]
	v_mul_f64_e32 v[34:35], v[46:47], v[66:67]
	v_fma_f64 v[70:71], v[0:1], v[72:73], -v[191:192]
	v_fma_f64 v[72:73], v[2:3], v[72:73], v[74:75]
	s_wait_loadcnt 0x1
	v_mul_f64_e32 v[56:57], v[40:41], v[54:55]
	v_add_f64_e32 v[66:67], v[151:152], v[195:196]
	ds_load_b128 v[0:3], v131
	v_fma_f64 v[74:75], v[4:5], v[76:77], -v[197:198]
	v_lshlrev_b32_e32 v4, 4, v90
	s_wait_loadcnt_dscnt 0x3
	v_mul_f64_e32 v[58:59], v[20:21], v[62:63]
	v_fma_f64 v[76:77], v[6:7], v[76:77], v[78:79]
	v_add_f64_e32 v[78:79], v[149:150], v[193:194]
	v_mul_f64_e32 v[54:55], v[38:39], v[54:55]
	v_mul_f64_e32 v[62:63], v[18:19], v[62:63]
	v_add_f64_e32 v[205:206], v[161:162], v[165:166]
	v_fma_f64 v[42:43], v[42:43], -0.5, v[149:150]
	v_fma_f64 v[50:51], v[50:51], -0.5, v[151:152]
	v_add_f64_e32 v[149:150], v[163:164], v[167:168]
	v_add_f64_e64 v[151:152], v[195:196], -v[139:140]
	v_add_f64_e64 v[193:194], v[193:194], -v[137:138]
	v_add3_u32 v217, 0, v89, v4
	ds_load_b128 v[4:7], v101
	s_wait_dscnt 0x3
	v_add_f64_e32 v[191:192], v[14:15], v[143:144]
	v_add_f64_e32 v[197:198], v[12:13], v[141:142]
	v_add_f64_e64 v[143:144], v[143:144], -v[147:148]
	v_add_f64_e64 v[141:142], v[141:142], -v[145:146]
	v_fma_f64 v[44:45], v[44:45], -0.5, v[12:13]
	v_fma_f64 v[181:182], v[181:182], -0.5, v[14:15]
	s_wait_dscnt 0x2
	v_add_f64_e32 v[201:202], v[28:29], v[155:156]
	v_add_f64_e32 v[203:204], v[26:27], v[153:154]
	v_add_f64_e64 v[155:156], v[155:156], -v[159:160]
	v_fma_f64 v[195:196], v[36:37], -0.5, v[26:27]
	v_add_f64_e64 v[153:154], v[153:154], -v[157:158]
	v_fma_f64 v[185:186], v[185:186], -0.5, v[28:29]
	v_fma_f64 v[89:90], v[8:9], v[68:69], -v[16:17]
	v_fma_f64 v[98:99], v[10:11], v[68:69], v[30:31]
	s_wait_dscnt 0x1
	v_add_f64_e32 v[68:69], v[0:1], v[161:162]
	v_add_f64_e64 v[161:162], v[161:162], -v[165:166]
	v_fma_f64 v[207:208], v[46:47], v[64:65], -v[32:33]
	v_fma_f64 v[209:210], v[48:49], v[64:65], v[34:35]
	v_add_f64_e32 v[64:65], v[2:3], v[163:164]
	v_add_f64_e64 v[163:164], v[163:164], -v[167:168]
	v_fma_f64 v[211:212], v[38:39], v[52:53], -v[56:57]
	v_add_f64_e32 v[10:11], v[66:67], v[139:140]
	v_lshlrev_b32_e32 v38, 4, v109
	v_fma_f64 v[213:214], v[18:19], v[60:61], -v[58:59]
	v_add_f64_e32 v[8:9], v[78:79], v[137:138]
	v_fma_f64 v[108:109], v[40:41], v[52:53], v[54:55]
	v_fma_f64 v[139:140], v[20:21], v[60:61], v[62:63]
	v_fma_f64 v[78:79], v[205:206], -0.5, v[0:1]
	v_add_f64_e32 v[20:21], v[169:170], v[173:174]
	v_fma_f64 v[137:138], v[149:150], -0.5, v[2:3]
	v_fma_f64 v[0:1], v[151:152], s[2:3], v[42:43]
	s_wait_alu 0xfffe
	v_fma_f64 v[2:3], v[193:194], s[6:7], v[50:51]
	v_fma_f64 v[26:27], v[151:152], s[6:7], v[42:43]
	v_fma_f64 v[28:29], v[193:194], s[2:3], v[50:51]
	v_add_f64_e32 v[14:15], v[191:192], v[147:148]
	v_add_f64_e32 v[12:13], v[197:198], v[145:146]
	;; [unrolled: 1-line block ×4, first 2 shown]
	v_fma_f64 v[30:31], v[143:144], s[2:3], v[44:45]
	v_fma_f64 v[32:33], v[141:142], s[6:7], v[181:182]
	;; [unrolled: 1-line block ×4, first 2 shown]
	v_add_f64_e32 v[18:19], v[201:202], v[159:160]
	v_add_f64_e32 v[16:17], v[203:204], v[157:158]
	v_fma_f64 v[42:43], v[155:156], s[2:3], v[195:196]
	v_fma_f64 v[44:45], v[153:154], s[6:7], v[185:186]
	;; [unrolled: 1-line block ×4, first 2 shown]
	v_add_f64_e32 v[141:142], v[171:172], v[175:176]
	v_add_f64_e32 v[143:144], v[177:178], v[133:134]
	;; [unrolled: 1-line block ×7, first 2 shown]
	v_add3_u32 v181, 0, v215, v38
	ds_load_b128 v[38:41], v100
	ds_load_b128 v[50:53], v106
	;; [unrolled: 1-line block ×4, first 2 shown]
	global_wb scope:SCOPE_SE
	s_wait_dscnt 0x0
	s_barrier_signal -1
	s_barrier_wait -1
	global_inv scope:SCOPE_SE
	v_add_f64_e32 v[159:160], v[211:212], v[213:214]
	ds_store_b128 v217, v[8:11]
	ds_store_b128 v217, v[0:3] offset:800
	ds_store_b128 v217, v[26:29] offset:1600
	ds_store_b128 v93, v[12:15]
	ds_store_b128 v93, v[30:33] offset:800
	ds_store_b128 v93, v[34:37] offset:1600
	;; [unrolled: 3-line block ×3, first 2 shown]
	v_add_f64_e32 v[8:9], v[108:109], v[139:140]
	v_fma_f64 v[10:11], v[20:21], -0.5, v[4:5]
	v_add_f64_e32 v[12:13], v[6:7], v[171:172]
	v_add_f64_e32 v[4:5], v[4:5], v[169:170]
	v_add_f64_e64 v[14:15], v[171:172], -v[175:176]
	v_add_f64_e64 v[18:19], v[169:170], -v[173:174]
	v_add_f64_e32 v[20:21], v[40:41], v[179:180]
	v_add_f64_e32 v[28:29], v[38:39], v[177:178]
	v_fma_f64 v[16:17], v[141:142], -0.5, v[6:7]
	v_fma_f64 v[26:27], v[143:144], -0.5, v[38:39]
	v_add_f64_e64 v[30:31], v[179:180], -v[135:136]
	v_fma_f64 v[32:33], v[145:146], -0.5, v[40:41]
	v_add_f64_e64 v[34:35], v[177:178], -v[133:134]
	v_add_f64_e32 v[38:39], v[24:25], v[187:188]
	v_add_f64_e32 v[40:41], v[22:23], v[183:184]
	v_fma_f64 v[36:37], v[147:148], -0.5, v[22:23]
	v_add_f64_e64 v[42:43], v[187:188], -v[199:200]
	v_fma_f64 v[44:45], v[149:150], -0.5, v[24:25]
	v_add_f64_e64 v[46:47], v[183:184], -v[189:190]
	v_fma_f64 v[66:67], v[163:164], s[2:3], v[78:79]
	v_fma_f64 v[0:1], v[163:164], s[6:7], v[78:79]
	v_fma_f64 v[48:49], v[151:152], -0.5, v[50:51]
	v_add_f64_e32 v[78:79], v[52:53], v[72:73]
	v_add_f64_e32 v[50:51], v[50:51], v[70:71]
	v_add_f64_e64 v[72:73], v[72:73], -v[76:77]
	v_fma_f64 v[52:53], v[153:154], -0.5, v[52:53]
	v_add_f64_e64 v[70:71], v[70:71], -v[74:75]
	v_add_f64_e32 v[64:65], v[64:65], v[167:168]
	v_add_f64_e32 v[62:63], v[68:69], v[165:166]
	v_fma_f64 v[68:69], v[161:162], s[6:7], v[137:138]
	v_fma_f64 v[2:3], v[161:162], s[2:3], v[137:138]
	v_fma_f64 v[137:138], v[155:156], -0.5, v[54:55]
	v_add_f64_e32 v[141:142], v[56:57], v[98:99]
	v_add_f64_e32 v[143:144], v[54:55], v[89:90]
	v_add_f64_e64 v[98:99], v[98:99], -v[209:210]
	v_fma_f64 v[145:146], v[157:158], -0.5, v[56:57]
	v_add_f64_e64 v[89:90], v[89:90], -v[207:208]
	v_add_f64_e32 v[149:150], v[60:61], v[108:109]
	v_add_f64_e32 v[151:152], v[58:59], v[211:212]
	v_fma_f64 v[147:148], v[159:160], -0.5, v[58:59]
	v_add_f64_e64 v[108:109], v[108:109], -v[139:140]
	v_fma_f64 v[153:154], v[8:9], -0.5, v[60:61]
	v_add_f64_e64 v[155:156], v[211:212], -v[213:214]
	v_add_f64_e32 v[6:7], v[12:13], v[175:176]
	v_add_f64_e32 v[4:5], v[4:5], v[173:174]
	v_fma_f64 v[8:9], v[14:15], s[2:3], v[10:11]
	v_fma_f64 v[12:13], v[14:15], s[6:7], v[10:11]
	v_fma_f64 v[10:11], v[18:19], s[6:7], v[16:17]
	v_fma_f64 v[14:15], v[18:19], s[2:3], v[16:17]
	v_add_f64_e32 v[18:19], v[20:21], v[135:136]
	v_add_f64_e32 v[16:17], v[28:29], v[133:134]
	v_fma_f64 v[20:21], v[30:31], s[2:3], v[26:27]
	v_fma_f64 v[22:23], v[34:35], s[6:7], v[32:33]
	v_fma_f64 v[24:25], v[30:31], s[6:7], v[26:27]
	v_fma_f64 v[26:27], v[34:35], s[2:3], v[32:33]
	;; [unrolled: 6-line block ×3, first 2 shown]
	v_add_f64_e32 v[42:43], v[78:79], v[76:77]
	v_add_f64_e32 v[40:41], v[50:51], v[74:75]
	v_fma_f64 v[44:45], v[72:73], s[2:3], v[48:49]
	v_fma_f64 v[48:49], v[72:73], s[6:7], v[48:49]
	;; [unrolled: 1-line block ×3, first 2 shown]
	v_add3_u32 v93, 0, v216, v132
	v_fma_f64 v[46:47], v[70:71], s[6:7], v[52:53]
	v_mul_u32_u24_e32 v70, 0x960, v88
	v_lshlrev_b32_e32 v71, 4, v94
	ds_store_b128 v93, v[62:65]
	ds_store_b128 v93, v[66:69] offset:800
	v_add_f64_e32 v[54:55], v[141:142], v[209:210]
	v_add_f64_e32 v[52:53], v[143:144], v[207:208]
	v_fma_f64 v[60:61], v[98:99], s[6:7], v[137:138]
	v_fma_f64 v[62:63], v[89:90], s[2:3], v[145:146]
	;; [unrolled: 1-line block ×4, first 2 shown]
	v_add_f64_e32 v[66:67], v[149:150], v[139:140]
	v_add_f64_e32 v[64:65], v[151:152], v[213:214]
	v_fma_f64 v[68:69], v[108:109], s[2:3], v[147:148]
	v_add3_u32 v76, 0, v70, v71
	v_fma_f64 v[70:71], v[155:156], s[6:7], v[153:154]
	v_fma_f64 v[72:73], v[108:109], s[6:7], v[147:148]
	;; [unrolled: 1-line block ×3, first 2 shown]
	ds_store_b128 v93, v[0:3] offset:1600
	v_mul_u32_u24_e32 v0, 0x960, v92
	v_lshlrev_b32_e32 v1, 4, v107
	v_mul_u32_u24_e32 v2, 0x960, v91
	v_lshlrev_b32_e32 v3, 4, v97
	ds_store_b128 v76, v[4:7]
	ds_store_b128 v76, v[8:11] offset:800
	v_lshlrev_b32_e32 v4, 4, v96
	v_add3_u32 v0, 0, v0, v1
	v_mul_u32_u24_e32 v1, 0x960, v95
	v_add3_u32 v2, 0, v2, v3
	ds_store_b128 v76, v[12:15] offset:1600
	ds_store_b128 v0, v[16:19]
	ds_store_b128 v0, v[20:23] offset:800
	ds_store_b128 v0, v[24:27] offset:1600
	v_add3_u32 v0, 0, v1, v4
	v_mul_u32_u24_e32 v3, 0x960, v110
	v_lshlrev_b32_e32 v4, 4, v111
	ds_store_b128 v2, v[28:31]
	ds_store_b128 v2, v[32:35] offset:800
	ds_store_b128 v2, v[36:39] offset:1600
	v_mul_u32_u24_e32 v1, 0x960, v118
	v_lshlrev_b32_e32 v2, 4, v126
	v_dual_mov_b32 v97, 0 :: v_dual_lshlrev_b32 v96, 1, v112
	v_add3_u32 v3, 0, v3, v4
	v_add_nc_u32_e32 v4, -15, v112
	ds_store_b128 v0, v[40:43]
	ds_store_b128 v0, v[44:47] offset:800
	v_add3_u32 v2, 0, v1, v2
	ds_store_b128 v0, v[48:51] offset:1600
	v_lshlrev_b64_e32 v[0:1], 4, v[96:97]
	s_wait_alu 0xf1ff
	v_cndmask_b32_e64 v110, v4, v117, s0
	ds_store_b128 v2, v[52:55]
	ds_store_b128 v2, v[56:59] offset:800
	ds_store_b128 v2, v[60:63] offset:1600
	ds_store_b128 v3, v[64:67]
	ds_store_b128 v3, v[68:71] offset:800
	ds_store_b128 v3, v[72:75] offset:1600
	v_add_co_u32 v98, s0, s4, v0
	v_mul_u32_u24_e32 v2, 0xda75, v80
	s_wait_alu 0xf1ff
	v_add_co_ci_u32_e64 v99, s0, s5, v1, s0
	v_dual_mov_b32 v1, v97 :: v_dual_lshlrev_b32 v0, 1, v110
	s_delay_alu instid0(VALU_DEP_3)
	v_lshrrev_b32_e32 v111, 22, v2
	v_mul_u32_u24_e32 v2, 0xda75, v81
	global_wb scope:SCOPE_SE
	s_wait_dscnt 0x0
	s_barrier_signal -1
	v_lshlrev_b64_e32 v[0:1], 4, v[0:1]
	v_mul_lo_u16 v3, 0x96, v111
	s_barrier_wait -1
	global_inv scope:SCOPE_SE
	global_load_b128 v[36:39], v[98:99], off offset:2240
	v_lshrrev_b32_e32 v134, 22, v2
	v_add_co_u32 v4, s0, s4, v0
	s_wait_alu 0xf1ff
	v_add_co_ci_u32_e64 v5, s0, s5, v1, s0
	v_sub_nc_u16 v6, v125, v3
	global_load_b128 v[0:3], v[98:99], off offset:2256
	v_mul_u32_u24_e32 v8, 0xda75, v82
	v_mul_lo_u16 v7, 0x96, v134
	s_clause 0x1
	global_load_b128 v[16:19], v[4:5], off offset:2240
	global_load_b128 v[12:15], v[4:5], off offset:2256
	v_and_b32_e32 v107, 0xffff, v6
	v_mul_u32_u24_e32 v22, 0xda75, v83
	v_lshrrev_b32_e32 v135, 22, v8
	v_sub_nc_u16 v4, v124, v7
	v_mul_u32_u24_e32 v30, 0xda75, v84
	v_lshlrev_b32_e32 v5, 5, v107
	v_lshrrev_b32_e32 v138, 22, v22
	v_mul_lo_u16 v20, 0x96, v135
	v_and_b32_e32 v108, 0xffff, v4
	s_clause 0x1
	global_load_b128 v[8:11], v5, s[4:5] offset:2240
	global_load_b128 v[4:7], v5, s[4:5] offset:2256
	v_mul_lo_u16 v29, 0x96, v138
	v_sub_nc_u16 v20, v123, v20
	v_lshlrev_b32_e32 v21, 5, v108
	v_lshrrev_b32_e32 v137, 22, v30
	v_mul_u32_u24_e32 v40, 0xda75, v85
	v_sub_nc_u16 v29, v122, v29
	v_and_b32_e32 v109, 0xffff, v20
	global_load_b128 v[24:27], v21, s[4:5] offset:2240
	v_mul_lo_u16 v41, 0x96, v137
	v_lshrrev_b32_e32 v139, 22, v40
	v_and_b32_e32 v126, 0xffff, v29
	v_lshlrev_b32_e32 v28, 5, v109
	v_mul_u32_u24_e32 v47, 0xda75, v86
	v_sub_nc_u16 v45, v121, v41
	v_mul_lo_u16 v46, 0x96, v139
	v_mul_u32_u24_e32 v50, 0xda75, v87
	s_clause 0x2
	global_load_b128 v[32:35], v28, s[4:5] offset:2240
	global_load_b128 v[20:23], v21, s[4:5] offset:2256
	;; [unrolled: 1-line block ×3, first 2 shown]
	v_and_b32_e32 v136, 0xffff, v45
	v_lshrrev_b32_e32 v140, 22, v47
	v_sub_nc_u16 v48, v120, v46
	v_lshlrev_b32_e32 v44, 5, v126
	v_mul_u32_u24_e32 v197, 0x1c20, v111
	v_lshlrev_b32_e32 v49, 5, v136
	v_mul_lo_u16 v51, 0x96, v140
	v_and_b32_e32 v118, 0xffff, v48
	v_lshrrev_b32_e32 v48, 22, v50
	s_clause 0x2
	global_load_b128 v[40:43], v44, s[4:5] offset:2240
	global_load_b128 v[64:67], v49, s[4:5] offset:2240
	global_load_b128 v[44:47], v44, s[4:5] offset:2256
	v_sub_nc_u16 v50, v119, v51
	v_mul_lo_u16 v48, 0x96, v48
	global_load_b128 v[68:71], v49, s[4:5] offset:2256
	v_mul_u32_u24_e32 v198, 0x1c20, v134
	v_mul_u32_u24_e32 v199, 0x1c20, v135
	v_and_b32_e32 v132, 0xffff, v50
	v_sub_nc_u16 v48, v116, v48
	v_mul_u32_u24_e32 v200, 0x1c20, v138
	v_mul_u32_u24_e32 v201, 0x1c20, v137
	v_cmp_lt_u32_e64 s0, 14, v112
	v_lshlrev_b32_e32 v50, 5, v132
	v_and_b32_e32 v133, 0xffff, v48
	v_mul_u32_u24_e32 v222, 0x1c20, v139
	v_mul_u32_u24_e32 v223, 0x1c20, v140
	v_lshlrev_b32_e32 v228, 4, v132
	global_load_b128 v[52:55], v50, s[4:5] offset:2240
	v_lshlrev_b32_e32 v49, 5, v118
	v_lshlrev_b32_e32 v76, 5, v133
	v_lshl_add_u32 v229, v133, 4, 0
	v_lshlrev_b32_e32 v118, 4, v118
	s_clause 0x4
	global_load_b128 v[72:75], v49, s[4:5] offset:2240
	global_load_b128 v[60:63], v49, s[4:5] offset:2256
	;; [unrolled: 1-line block ×5, first 2 shown]
	ds_load_b128 v[92:95], v127 offset:21600
	ds_load_b128 v[88:91], v127 offset:43200
	;; [unrolled: 1-line block ×4, first 2 shown]
	ds_load_b128 v[141:144], v127
	ds_load_b128 v[145:148], v127 offset:25920
	ds_load_b128 v[149:152], v127 offset:47520
	;; [unrolled: 1-line block ×7, first 2 shown]
	s_wait_loadcnt_dscnt 0x130b
	v_mul_f64_e32 v[173:174], v[94:95], v[38:39]
	v_mul_f64_e32 v[38:39], v[92:93], v[38:39]
	s_wait_loadcnt_dscnt 0x120a
	v_mul_f64_e32 v[175:176], v[90:91], v[2:3]
	v_mul_f64_e32 v[2:3], v[88:89], v[2:3]
	;; [unrolled: 3-line block ×4, first 2 shown]
	s_wait_alu 0xf1ff
	v_cndmask_b32_e64 v14, 0, 0x1c20, s0
	v_cmp_gt_u32_e64 s0, 45, v112
	s_wait_loadcnt_dscnt 0xf06
	v_mul_f64_e32 v[183:184], v[147:148], v[10:11]
	v_mul_f64_e32 v[185:186], v[145:146], v[10:11]
	v_lshlrev_b32_e32 v10, 4, v110
	s_wait_loadcnt_dscnt 0xe05
	v_mul_f64_e32 v[187:188], v[151:152], v[6:7]
	v_mul_f64_e32 v[189:190], v[149:150], v[6:7]
	s_delay_alu instid0(VALU_DEP_3)
	v_add3_u32 v221, 0, v14, v10
	v_fma_f64 v[92:93], v[92:93], v[36:37], -v[173:174]
	s_wait_loadcnt_dscnt 0xb03
	v_mul_f64_e32 v[110:111], v[159:160], v[22:23]
	v_fma_f64 v[94:95], v[94:95], v[36:37], v[38:39]
	v_mul_f64_e32 v[38:39], v[157:158], v[22:23]
	s_wait_dscnt 0x1
	v_mul_f64_e32 v[134:135], v[163:164], v[34:35]
	v_mul_f64_e32 v[173:174], v[161:162], v[34:35]
	s_wait_loadcnt 0xa
	v_mul_f64_e32 v[137:138], v[167:168], v[30:31]
	v_fma_f64 v[88:89], v[88:89], v[0:1], -v[175:176]
	v_fma_f64 v[90:91], v[90:91], v[0:1], v[2:3]
	ds_load_b128 v[0:3], v127 offset:54000
	v_mul_f64_e32 v[191:192], v[155:156], v[26:27]
	v_mul_f64_e32 v[26:27], v[153:154], v[26:27]
	;; [unrolled: 1-line block ×3, first 2 shown]
	v_fma_f64 v[177:178], v[84:85], v[16:17], -v[177:178]
	v_fma_f64 v[193:194], v[86:87], v[16:17], v[18:19]
	ds_load_b128 v[14:17], v127 offset:34560
	ds_load_b128 v[34:37], v127 offset:56160
	v_fma_f64 v[179:180], v[80:81], v[12:13], -v[179:180]
	v_fma_f64 v[181:182], v[82:83], v[12:13], v[181:182]
	ds_load_b128 v[10:13], v129
	s_wait_loadcnt_dscnt 0x904
	v_mul_f64_e32 v[195:196], v[171:172], v[42:43]
	v_fma_f64 v[139:140], v[145:146], v[8:9], -v[183:184]
	v_fma_f64 v[145:146], v[147:148], v[8:9], v[185:186]
	ds_load_b128 v[6:9], v127 offset:36720
	ds_load_b128 v[80:83], v127 offset:58320
	v_fma_f64 v[147:148], v[149:150], v[4:5], -v[187:188]
	v_fma_f64 v[149:150], v[151:152], v[4:5], v[189:190]
	ds_load_b128 v[84:87], v127 offset:60480
	v_mul_f64_e32 v[42:43], v[169:170], v[42:43]
	s_wait_loadcnt_dscnt 0x706
	v_mul_f64_e32 v[4:5], v[2:3], v[46:47]
	v_fma_f64 v[110:111], v[157:158], v[20:21], -v[110:111]
	s_wait_loadcnt_dscnt 0x604
	v_mul_f64_e32 v[157:158], v[36:37], v[70:71]
	v_mul_f64_e32 v[70:71], v[34:35], v[70:71]
	v_fma_f64 v[134:135], v[161:162], v[32:33], -v[134:135]
	s_wait_loadcnt_dscnt 0x402
	v_mul_f64_e32 v[161:162], v[8:9], v[74:75]
	;; [unrolled: 4-line block ×3, first 2 shown]
	v_fma_f64 v[151:152], v[153:154], v[24:25], -v[191:192]
	v_fma_f64 v[153:154], v[155:156], v[24:25], v[26:27]
	ds_load_b128 v[22:25], v127 offset:38880
	v_mul_f64_e32 v[26:27], v[0:1], v[46:47]
	v_fma_f64 v[155:156], v[159:160], v[20:21], v[38:39]
	ds_load_b128 v[18:21], v127 offset:41040
	v_fma_f64 v[159:160], v[163:164], v[32:33], v[173:174]
	ds_load_b128 v[30:33], v127 offset:62640
	v_mul_f64_e32 v[46:47], v[16:17], v[66:67]
	v_mul_f64_e32 v[66:67], v[14:15], v[66:67]
	v_lshlrev_b32_e32 v38, 4, v107
	v_lshlrev_b32_e32 v39, 4, v108
	v_mul_f64_e32 v[107:108], v[82:83], v[62:63]
	v_fma_f64 v[163:164], v[167:168], v[28:29], v[175:176]
	s_wait_loadcnt_dscnt 0x203
	v_mul_f64_e32 v[173:174], v[86:87], v[50:51]
	v_mul_f64_e32 v[50:51], v[84:85], v[50:51]
	v_lshlrev_b32_e32 v28, 4, v109
	v_lshlrev_b32_e32 v29, 4, v126
	v_fma_f64 v[169:170], v[169:170], v[40:41], -v[195:196]
	v_fma_f64 v[185:186], v[0:1], v[44:45], -v[4:5]
	v_fma_f64 v[171:172], v[171:172], v[40:41], v[42:43]
	v_add3_u32 v225, 0, v199, v28
	s_wait_dscnt 0x2
	v_mul_f64_e32 v[167:168], v[24:25], v[54:55]
	v_mul_f64_e32 v[54:55], v[22:23], v[54:55]
	v_add3_u32 v226, 0, v200, v29
	s_wait_loadcnt_dscnt 0x101
	v_mul_f64_e32 v[175:176], v[20:21], v[58:59]
	v_mul_f64_e32 v[58:59], v[18:19], v[58:59]
	s_wait_loadcnt_dscnt 0x0
	v_mul_f64_e32 v[183:184], v[32:33], v[78:79]
	v_mul_f64_e32 v[78:79], v[30:31], v[78:79]
	v_lshlrev_b32_e32 v40, 4, v136
	v_fma_f64 v[157:158], v[34:35], v[68:69], -v[157:158]
	v_fma_f64 v[68:69], v[36:37], v[68:69], v[70:71]
	v_add3_u32 v126, 0, v197, v38
	v_fma_f64 v[70:71], v[6:7], v[72:73], -v[161:162]
	v_fma_f64 v[8:9], v[8:9], v[72:73], v[74:75]
	v_add_f64_e32 v[74:75], v[92:93], v[88:89]
	v_add_f64_e32 v[191:192], v[134:135], v[137:138]
	v_add3_u32 v224, 0, v198, v39
	v_add3_u32 v227, 0, v201, v40
	v_fma_f64 v[187:188], v[2:3], v[44:45], v[26:27]
	ds_load_b128 v[0:3], v102
	ds_load_b128 v[26:29], v103
	v_fma_f64 v[46:47], v[14:15], v[64:65], -v[46:47]
	v_fma_f64 v[66:67], v[16:17], v[64:65], v[66:67]
	ds_load_b128 v[14:17], v131
	ds_load_b128 v[38:41], v101
	;; [unrolled: 1-line block ×4, first 2 shown]
	v_fma_f64 v[72:73], v[80:81], v[60:61], -v[107:108]
	v_add_f64_e32 v[80:81], v[94:95], v[90:91]
	v_fma_f64 v[60:61], v[82:83], v[60:61], v[165:166]
	v_add_f64_e32 v[107:108], v[141:142], v[92:93]
	v_add_f64_e64 v[92:93], v[92:93], -v[88:89]
	ds_load_b128 v[4:7], v105
	ds_load_b128 v[62:65], v104
	v_add_f64_e64 v[132:133], v[159:160], -v[163:164]
	v_add_f64_e32 v[195:196], v[169:170], v[185:186]
	global_wb scope:SCOPE_SE
	s_wait_dscnt 0x0
	s_barrier_signal -1
	v_fma_f64 v[82:83], v[22:23], v[52:53], -v[167:168]
	v_add_f64_e32 v[22:23], v[143:144], v[94:95]
	v_fma_f64 v[52:53], v[24:25], v[52:53], v[54:55]
	v_fma_f64 v[54:55], v[84:85], v[48:49], -v[173:174]
	v_add_f64_e32 v[24:25], v[177:178], v[179:180]
	v_add_f64_e32 v[84:85], v[193:194], v[181:182]
	v_fma_f64 v[48:49], v[86:87], v[48:49], v[50:51]
	v_fma_f64 v[50:51], v[18:19], v[56:57], -v[175:176]
	v_add_f64_e32 v[86:87], v[2:3], v[193:194]
	v_add_f64_e32 v[161:162], v[0:1], v[177:178]
	v_fma_f64 v[56:57], v[20:21], v[56:57], v[58:59]
	v_fma_f64 v[165:166], v[30:31], v[76:77], -v[183:184]
	v_fma_f64 v[76:77], v[32:33], v[76:77], v[78:79]
	v_add_f64_e32 v[78:79], v[26:27], v[139:140]
	v_add_f64_e64 v[175:176], v[193:194], -v[181:182]
	v_add_f64_e32 v[193:194], v[159:160], v[163:164]
	v_add_f64_e32 v[32:33], v[28:29], v[145:146]
	;; [unrolled: 1-line block ×9, first 2 shown]
	v_add_f64_e64 v[94:95], v[94:95], -v[90:91]
	v_add_f64_e32 v[199:200], v[40:41], v[159:160]
	v_add_f64_e32 v[201:202], v[38:39], v[134:135]
	v_add_f64_e64 v[139:140], v[139:140], -v[147:148]
	v_fma_f64 v[74:75], v[74:75], -0.5, v[141:142]
	v_fma_f64 v[80:81], v[80:81], -0.5, v[143:144]
	v_add_f64_e32 v[141:142], v[36:37], v[171:172]
	v_add_f64_e32 v[143:144], v[34:35], v[169:170]
	;; [unrolled: 1-line block ×4, first 2 shown]
	v_fma_f64 v[38:39], v[191:192], -0.5, v[38:39]
	v_add_f64_e32 v[205:206], v[10:11], v[46:47]
	v_add_f64_e64 v[145:146], v[145:146], -v[149:150]
	v_add_f64_e64 v[177:178], v[177:178], -v[179:180]
	v_add_f64_e32 v[209:210], v[4:5], v[82:83]
	v_add_f64_e32 v[20:21], v[22:23], v[90:91]
	;; [unrolled: 1-line block ×3, first 2 shown]
	v_add_f64_e64 v[153:154], v[153:154], -v[155:156]
	v_fma_f64 v[107:108], v[24:25], -0.5, v[0:1]
	v_fma_f64 v[84:85], v[84:85], -0.5, v[2:3]
	v_add_f64_e32 v[203:204], v[12:13], v[66:67]
	v_add_f64_e32 v[207:208], v[42:43], v[70:71]
	;; [unrolled: 1-line block ×6, first 2 shown]
	v_add_f64_e64 v[134:135], v[134:135], -v[137:138]
	v_add_f64_e32 v[22:23], v[78:79], v[147:148]
	v_add_f64_e32 v[147:148], v[52:53], v[48:49]
	v_fma_f64 v[191:192], v[193:194], -0.5, v[40:41]
	v_add_f64_e32 v[40:41], v[50:51], v[165:166]
	v_add_f64_e32 v[193:194], v[56:57], v[76:77]
	;; [unrolled: 1-line block ×4, first 2 shown]
	v_fma_f64 v[149:150], v[167:168], -0.5, v[14:15]
	v_fma_f64 v[167:168], v[173:174], -0.5, v[16:17]
	v_add_f64_e32 v[173:174], v[6:7], v[52:53]
	v_fma_f64 v[179:180], v[30:31], -0.5, v[26:27]
	v_fma_f64 v[181:182], v[58:59], -0.5, v[28:29]
	v_add_f64_e32 v[58:59], v[44:45], v[8:9]
	v_add_f64_e32 v[14:15], v[189:190], v[110:111]
	v_add_f64_e64 v[109:110], v[151:152], -v[110:111]
	v_add_f64_e32 v[16:17], v[183:184], v[155:156]
	v_add_f64_e32 v[155:156], v[64:65], v[56:57]
	v_add_f64_e64 v[151:152], v[171:172], -v[187:188]
	v_add_f64_e64 v[159:160], v[169:170], -v[185:186]
	v_fma_f64 v[195:196], v[195:196], -0.5, v[34:35]
	v_fma_f64 v[197:198], v[197:198], -0.5, v[36:37]
	v_add_f64_e32 v[215:216], v[62:63], v[50:51]
	v_add_f64_e64 v[169:170], v[66:67], -v[68:69]
	v_add_f64_e64 v[171:172], v[46:47], -v[157:158]
	;; [unrolled: 1-line block ×7, first 2 shown]
	v_add_f64_e32 v[28:29], v[199:200], v[163:164]
	v_add_f64_e32 v[26:27], v[201:202], v[137:138]
	;; [unrolled: 1-line block ×4, first 2 shown]
	v_fma_f64 v[136:137], v[88:89], -0.5, v[10:11]
	v_fma_f64 v[12:13], v[90:91], -0.5, v[12:13]
	;; [unrolled: 1-line block ×4, first 2 shown]
	v_add_f64_e64 v[211:212], v[52:53], -v[48:49]
	v_add_f64_e32 v[8:9], v[205:206], v[157:158]
	v_fma_f64 v[147:148], v[147:148], -0.5, v[6:7]
	v_fma_f64 v[42:43], v[94:95], s[2:3], v[74:75]
	v_fma_f64 v[161:162], v[40:41], -0.5, v[62:63]
	v_fma_f64 v[163:164], v[193:194], -0.5, v[64:65]
	;; [unrolled: 1-line block ×3, first 2 shown]
	v_fma_f64 v[44:45], v[92:93], s[6:7], v[80:81]
	v_fma_f64 v[46:47], v[94:95], s[6:7], v[74:75]
	v_fma_f64 v[50:51], v[175:176], s[2:3], v[107:108]
	v_add_f64_e32 v[6:7], v[173:174], v[48:49]
	v_fma_f64 v[48:49], v[92:93], s[2:3], v[80:81]
	v_fma_f64 v[52:53], v[177:178], s[6:7], v[84:85]
	v_add_f64_e32 v[4:5], v[209:210], v[54:55]
	v_fma_f64 v[54:55], v[175:176], s[6:7], v[107:108]
	v_fma_f64 v[56:57], v[177:178], s[2:3], v[84:85]
	;; [unrolled: 3-line block ×3, first 2 shown]
	v_fma_f64 v[62:63], v[145:146], s[6:7], v[179:180]
	v_fma_f64 v[64:65], v[139:140], s[2:3], v[181:182]
	v_add_f64_e32 v[10:11], v[203:204], v[68:69]
	v_fma_f64 v[66:67], v[153:154], s[2:3], v[149:150]
	v_fma_f64 v[68:69], v[109:110], s[6:7], v[167:168]
	v_add_f64_e32 v[34:35], v[207:208], v[72:73]
	v_fma_f64 v[70:71], v[153:154], s[6:7], v[149:150]
	v_fma_f64 v[72:73], v[109:110], s[2:3], v[167:168]
	v_add_f64_e32 v[40:41], v[155:156], v[76:77]
	v_fma_f64 v[74:75], v[132:133], s[2:3], v[38:39]
	v_fma_f64 v[76:77], v[134:135], s[6:7], v[191:192]
	;; [unrolled: 1-line block ×8, first 2 shown]
	v_add_f64_e32 v[38:39], v[215:216], v[165:166]
	v_fma_f64 v[90:91], v[169:170], s[2:3], v[136:137]
	v_fma_f64 v[107:108], v[169:170], s[6:7], v[136:137]
	;; [unrolled: 1-line block ×16, first 2 shown]
	v_add3_u32 v12, 0, v222, v118
	v_add3_u32 v13, 0, v223, v228
	s_barrier_wait -1
	global_inv scope:SCOPE_SE
	ds_store_b128 v127, v[18:21]
	ds_store_b128 v127, v[42:45] offset:2400
	ds_store_b128 v127, v[46:49] offset:4800
	ds_store_b128 v221, v[0:3]
	ds_store_b128 v221, v[50:53] offset:2400
	ds_store_b128 v221, v[54:57] offset:4800
	;; [unrolled: 3-line block ×9, first 2 shown]
	v_dual_mov_b32 v1, v97 :: v_dual_lshlrev_b32 v0, 1, v117
	v_subrev_nc_u32_e32 v8, 45, v112
	v_dual_mov_b32 v3, v97 :: v_dual_lshlrev_b32 v2, 1, v125
	ds_store_b128 v229, v[38:41] offset:57600
	ds_store_b128 v229, v[148:151] offset:60000
	ds_store_b128 v229, v[152:155] offset:62400
	v_lshlrev_b64_e32 v[0:1], 4, v[0:1]
	s_wait_alu 0xf1ff
	v_cndmask_b32_e64 v88, v8, v124, s0
	v_lshlrev_b64_e32 v[2:3], 4, v[2:3]
	global_wb scope:SCOPE_SE
	s_wait_dscnt 0x0
	s_barrier_signal -1
	s_barrier_wait -1
	v_add_co_u32 v82, s0, s4, v0
	s_wait_alu 0xf1ff
	v_add_co_ci_u32_e64 v83, s0, s5, v1, s0
	v_dual_mov_b32 v1, v97 :: v_dual_lshlrev_b32 v0, 1, v88
	global_inv scope:SCOPE_SE
	s_clause 0x2
	global_load_b128 v[4:7], v[98:99], off offset:7040
	global_load_b128 v[16:19], v[82:83], off offset:7040
	global_load_b128 v[8:11], v[98:99], off offset:7056
	v_lshlrev_b64_e32 v[20:21], 4, v[0:1]
	v_add_co_u32 v80, s0, s4, v2
	v_and_b32_e32 v28, 0xffff, v121
	s_wait_alu 0xf1ff
	v_add_co_ci_u32_e64 v81, s0, s5, v3, s0
	s_delay_alu instid0(VALU_DEP_4)
	v_add_co_u32 v20, s0, s4, v20
	v_dual_mov_b32 v23, v97 :: v_dual_add_nc_u32 v22, 0xb4, v96
	s_wait_alu 0xf1ff
	v_add_co_ci_u32_e64 v21, s0, s5, v21, s0
	v_mul_u32_u24_e32 v34, 0x91a3, v28
	s_clause 0x2
	global_load_b128 v[12:15], v[82:83], off offset:7056
	global_load_b128 v[0:3], v[80:81], off offset:7040
	;; [unrolled: 1-line block ×3, first 2 shown]
	v_lshlrev_b64_e32 v[32:33], 4, v[22:23]
	s_clause 0x1
	global_load_b128 v[28:31], v[20:21], off offset:7040
	global_load_b128 v[20:23], v[20:21], off offset:7056
	v_lshrrev_b32_e32 v84, 24, v34
	v_add_nc_u32_e32 v96, 0x1c2, v96
	v_and_b32_e32 v34, 0xffff, v120
	v_and_b32_e32 v46, 0xffff, v119
	v_add_co_u32 v32, s0, s4, v32
	v_mul_lo_u16 v42, 0x1c2, v84
	v_lshlrev_b64_e32 v[40:41], 4, v[96:97]
	v_mul_u32_u24_e32 v43, 0x91a3, v34
	s_wait_alu 0xf1ff
	v_add_co_ci_u32_e64 v33, s0, s5, v33, s0
	v_sub_nc_u16 v42, v121, v42
	v_mul_u32_u24_e32 v46, 0x91a3, v46
	v_add_co_u32 v44, s0, s4, v40
	v_lshrrev_b32_e32 v43, 24, v43
	s_delay_alu instid0(VALU_DEP_4)
	v_and_b32_e32 v89, 0xffff, v42
	s_wait_alu 0xf1ff
	v_add_co_ci_u32_e64 v45, s0, s5, v41, s0
	v_and_b32_e32 v48, 0xffff, v116
	global_load_b128 v[36:39], v[32:33], off offset:7040
	v_lshlrev_b32_e32 v49, 5, v89
	v_mul_lo_u16 v47, 0x1c2, v43
	global_load_b128 v[40:43], v[44:45], off offset:7040
	v_lshrrev_b32_e32 v46, 24, v46
	s_clause 0x2
	global_load_b128 v[72:75], v[44:45], off offset:7056
	global_load_b128 v[68:71], v49, s[4:5] offset:7056
	global_load_b128 v[32:35], v[32:33], off offset:7056
	v_mul_u32_u24_e32 v44, 0x91a3, v48
	v_mul_lo_u16 v45, 0x1c2, v46
	v_sub_nc_u16 v47, v120, v47
	global_load_b128 v[76:79], v49, s[4:5] offset:7040
	v_cmp_lt_u32_e64 s0, 44, v112
	v_lshrrev_b32_e32 v44, 24, v44
	v_sub_nc_u16 v45, v119, v45
	v_and_b32_e32 v87, 0xffff, v47
	v_lshlrev_b32_e32 v88, 4, v88
	s_wait_alu 0xf1ff
	v_cndmask_b32_e64 v96, 0, 0x5460, s0
	v_mul_lo_u16 v44, 0x1c2, v44
	v_and_b32_e32 v86, 0xffff, v45
	v_lshlrev_b32_e32 v46, 5, v87
	v_lshlrev_b32_e32 v111, 4, v89
	v_add3_u32 v96, 0, v96, v88
	v_sub_nc_u16 v44, v116, v44
	v_lshlrev_b32_e32 v45, 5, v86
	s_clause 0x1
	global_load_b128 v[56:59], v46, s[4:5] offset:7056
	global_load_b128 v[60:63], v46, s[4:5] offset:7040
	v_mul_u32_u24_e32 v84, 0x5460, v84
	v_and_b32_e32 v85, 0xffff, v44
	global_load_b128 v[52:55], v45, s[4:5] offset:7040
	v_lshlrev_b32_e32 v64, 5, v85
	s_clause 0x2
	global_load_b128 v[44:47], v45, s[4:5] offset:7056
	global_load_b128 v[48:51], v64, s[4:5] offset:7040
	;; [unrolled: 1-line block ×3, first 2 shown]
	ds_load_b128 v[90:93], v127 offset:21600
	ds_load_b128 v[107:110], v127 offset:43200
	;; [unrolled: 1-line block ×5, first 2 shown]
	ds_load_b128 v[144:147], v127
	ds_load_b128 v[148:151], v127 offset:47520
	ds_load_b128 v[156:159], v127 offset:49680
	ds_load_b128 v[152:155], v127 offset:28080
	ds_load_b128 v[160:163], v127 offset:30240
	ds_load_b128 v[168:171], v127 offset:32400
	ds_load_b128 v[164:167], v127 offset:51840
	ds_load_b128 v[172:175], v127 offset:54000
	s_wait_loadcnt_dscnt 0x130c
	v_mul_f64_e32 v[94:95], v[92:93], v[6:7]
	v_mul_f64_e32 v[6:7], v[90:91], v[6:7]
	s_wait_loadcnt_dscnt 0x110b
	v_mul_f64_e32 v[176:177], v[109:110], v[10:11]
	v_mul_f64_e32 v[10:11], v[107:108], v[10:11]
	s_wait_dscnt 0xa
	v_mul_f64_e32 v[178:179], v[134:135], v[18:19]
	v_mul_f64_e32 v[18:19], v[132:133], v[18:19]
	s_wait_loadcnt_dscnt 0x1009
	v_mul_f64_e32 v[180:181], v[138:139], v[14:15]
	s_wait_loadcnt_dscnt 0xf08
	;; [unrolled: 2-line block ×3, first 2 shown]
	v_mul_f64_e32 v[188:189], v[150:151], v[26:27]
	v_mul_f64_e32 v[26:27], v[148:149], v[26:27]
	s_wait_loadcnt_dscnt 0xd04
	v_mul_f64_e32 v[190:191], v[154:155], v[30:31]
	v_mul_f64_e32 v[30:31], v[152:153], v[30:31]
	s_wait_loadcnt 0xc
	v_mul_f64_e32 v[192:193], v[158:159], v[22:23]
	v_mul_f64_e32 v[194:195], v[156:157], v[22:23]
	;; [unrolled: 1-line block ×4, first 2 shown]
	v_fma_f64 v[94:95], v[90:91], v[4:5], -v[94:95]
	v_fma_f64 v[196:197], v[92:93], v[4:5], v[6:7]
	v_fma_f64 v[176:177], v[107:108], v[8:9], -v[176:177]
	v_fma_f64 v[200:201], v[109:110], v[8:9], v[10:11]
	ds_load_b128 v[2:5], v127 offset:34560
	ds_load_b128 v[6:9], v127 offset:36720
	v_fma_f64 v[132:133], v[132:133], v[16:17], -v[178:179]
	s_wait_loadcnt_dscnt 0xa04
	v_mul_f64_e32 v[178:179], v[170:171], v[42:43]
	v_mul_f64_e32 v[42:43], v[168:169], v[42:43]
	v_fma_f64 v[134:135], v[134:135], v[16:17], v[18:19]
	ds_load_b128 v[14:17], v127 offset:56160
	ds_load_b128 v[90:93], v127 offset:58320
	;; [unrolled: 1-line block ×3, first 2 shown]
	v_mul_f64_e32 v[198:199], v[162:163], v[38:39]
	v_mul_f64_e32 v[38:39], v[160:161], v[38:39]
	s_wait_loadcnt_dscnt 0x706
	v_mul_f64_e32 v[202:203], v[166:167], v[34:35]
	v_mul_f64_e32 v[34:35], v[164:165], v[34:35]
	v_fma_f64 v[136:137], v[136:137], v[12:13], -v[180:181]
	v_fma_f64 v[140:141], v[140:141], v[0:1], -v[184:185]
	;; [unrolled: 1-line block ×3, first 2 shown]
	v_fma_f64 v[150:151], v[150:151], v[24:25], v[26:27]
	ds_load_b128 v[22:25], v127 offset:38880
	v_fma_f64 v[152:153], v[152:153], v[28:29], -v[190:191]
	v_fma_f64 v[154:155], v[154:155], v[28:29], v[30:31]
	ds_load_b128 v[26:29], v127 offset:41040
	v_fma_f64 v[156:157], v[156:157], v[20:21], -v[192:193]
	v_fma_f64 v[158:159], v[158:159], v[20:21], v[194:195]
	ds_load_b128 v[18:21], v127 offset:62640
	v_fma_f64 v[142:143], v[142:143], v[0:1], v[186:187]
	s_wait_dscnt 0x8
	v_mul_f64_e32 v[0:1], v[174:175], v[74:75]
	v_mul_f64_e32 v[74:75], v[172:173], v[74:75]
	s_wait_loadcnt_dscnt 0x607
	v_mul_f64_e32 v[180:181], v[4:5], v[78:79]
	v_fma_f64 v[138:139], v[138:139], v[12:13], v[182:183]
	v_mul_f64_e32 v[78:79], v[2:3], v[78:79]
	s_wait_dscnt 0x5
	v_mul_f64_e32 v[182:183], v[16:17], v[70:71]
	v_mul_f64_e32 v[70:71], v[14:15], v[70:71]
	s_wait_loadcnt 0x4
	v_mul_f64_e32 v[184:185], v[8:9], v[62:63]
	v_mul_f64_e32 v[62:63], v[6:7], v[62:63]
	s_wait_dscnt 0x4
	v_mul_f64_e32 v[186:187], v[92:93], v[58:59]
	v_mul_f64_e32 v[188:189], v[90:91], v[58:59]
	s_wait_loadcnt_dscnt 0x203
	v_mul_f64_e32 v[192:193], v[109:110], v[46:47]
	s_wait_dscnt 0x2
	v_mul_f64_e32 v[190:191], v[24:25], v[54:55]
	v_mul_f64_e32 v[54:55], v[22:23], v[54:55]
	;; [unrolled: 1-line block ×3, first 2 shown]
	s_wait_loadcnt_dscnt 0x101
	v_mul_f64_e32 v[194:195], v[28:29], v[50:51]
	v_mul_f64_e32 v[50:51], v[26:27], v[50:51]
	v_fma_f64 v[168:169], v[168:169], v[40:41], -v[178:179]
	v_fma_f64 v[42:43], v[170:171], v[40:41], v[42:43]
	s_wait_loadcnt_dscnt 0x0
	v_mul_f64_e32 v[170:171], v[20:21], v[66:67]
	v_mul_f64_e32 v[178:179], v[18:19], v[66:67]
	ds_load_b128 v[10:13], v129
	v_fma_f64 v[160:161], v[160:161], v[36:37], -v[198:199]
	v_fma_f64 v[162:163], v[162:163], v[36:37], v[38:39]
	v_fma_f64 v[164:165], v[164:165], v[32:33], -v[202:203]
	v_fma_f64 v[166:167], v[166:167], v[32:33], v[34:35]
	ds_load_b128 v[30:33], v102
	ds_load_b128 v[34:37], v103
	v_fma_f64 v[172:173], v[172:173], v[72:73], -v[0:1]
	v_fma_f64 v[72:73], v[174:175], v[72:73], v[74:75]
	v_fma_f64 v[74:75], v[2:3], v[76:77], -v[180:181]
	ds_load_b128 v[0:3], v131
	ds_load_b128 v[38:41], v101
	v_fma_f64 v[76:77], v[4:5], v[76:77], v[78:79]
	v_fma_f64 v[78:79], v[14:15], v[68:69], -v[182:183]
	v_fma_f64 v[70:71], v[16:17], v[68:69], v[70:71]
	v_fma_f64 v[174:175], v[6:7], v[60:61], -v[184:185]
	;; [unrolled: 2-line block ×3, first 2 shown]
	v_add_f64_e32 v[90:91], v[94:95], v[176:177]
	v_fma_f64 v[56:57], v[92:93], v[56:57], v[188:189]
	v_fma_f64 v[180:181], v[22:23], v[52:53], -v[190:191]
	v_fma_f64 v[52:53], v[24:25], v[52:53], v[54:55]
	v_add_f64_e32 v[22:23], v[146:147], v[196:197]
	v_add_f64_e32 v[24:25], v[144:145], v[94:95]
	;; [unrolled: 1-line block ×3, first 2 shown]
	v_fma_f64 v[54:55], v[107:108], v[44:45], -v[192:193]
	v_fma_f64 v[44:45], v[109:110], v[44:45], v[46:47]
	v_fma_f64 v[109:110], v[26:27], v[48:49], -v[194:195]
	v_fma_f64 v[48:49], v[28:29], v[48:49], v[50:51]
	s_wait_dscnt 0x3
	v_add_f64_e32 v[26:27], v[32:33], v[134:135]
	v_add_f64_e32 v[28:29], v[30:31], v[132:133]
	s_wait_dscnt 0x2
	v_add_f64_e32 v[182:183], v[36:37], v[142:143]
	v_add_f64_e32 v[184:185], v[34:35], v[140:141]
	v_fma_f64 v[50:51], v[18:19], v[64:65], -v[170:171]
	v_fma_f64 v[64:65], v[20:21], v[64:65], v[178:179]
	v_add_f64_e32 v[188:189], v[152:153], v[156:157]
	v_add_f64_e32 v[190:191], v[154:155], v[158:159]
	s_wait_dscnt 0x1
	v_add_f64_e32 v[192:193], v[2:3], v[154:155]
	v_add_f64_e32 v[194:195], v[0:1], v[152:153]
	ds_load_b128 v[14:17], v100
	ds_load_b128 v[66:69], v106
	v_add_f64_e32 v[46:47], v[132:133], v[136:137]
	v_add_f64_e32 v[107:108], v[134:135], v[138:139]
	v_add_f64_e64 v[186:187], v[196:197], -v[200:201]
	v_add_f64_e32 v[196:197], v[160:161], v[164:165]
	v_add_f64_e32 v[170:171], v[140:141], v[148:149]
	;; [unrolled: 1-line block ×6, first 2 shown]
	v_add_f64_e64 v[94:95], v[94:95], -v[176:177]
	ds_load_b128 v[4:7], v105
	ds_load_b128 v[58:61], v104
	v_add_f64_e64 v[134:135], v[134:135], -v[138:139]
	v_add_f64_e64 v[132:133], v[132:133], -v[136:137]
	v_add_f64_e32 v[212:213], v[10:11], v[74:75]
	v_add_f64_e64 v[142:143], v[142:143], -v[150:151]
	v_add_f64_e64 v[140:141], v[140:141], -v[148:149]
	v_fma_f64 v[90:91], v[90:91], -0.5, v[144:145]
	s_wait_dscnt 0x4
	v_add_f64_e32 v[206:207], v[40:41], v[162:163]
	s_wait_dscnt 0x3
	v_add_f64_e32 v[144:145], v[16:17], v[42:43]
	v_add_f64_e32 v[208:209], v[38:39], v[160:161]
	;; [unrolled: 1-line block ×6, first 2 shown]
	v_fma_f64 v[92:93], v[92:93], -0.5, v[146:147]
	v_add_f64_e32 v[146:147], v[14:15], v[168:169]
	v_add_f64_e64 v[154:155], v[154:155], -v[158:159]
	v_add_f64_e32 v[24:25], v[26:27], v[138:139]
	v_add_f64_e32 v[22:23], v[28:29], v[136:137]
	;; [unrolled: 1-line block ×8, first 2 shown]
	v_add_f64_e64 v[152:153], v[152:153], -v[156:157]
	v_fma_f64 v[182:183], v[188:189], -0.5, v[0:1]
	v_fma_f64 v[184:185], v[190:191], -0.5, v[2:3]
	v_add_f64_e32 v[2:3], v[192:193], v[158:159]
	v_add_f64_e32 v[0:1], v[194:195], v[156:157]
	;; [unrolled: 1-line block ×4, first 2 shown]
	s_wait_dscnt 0x1
	v_add_f64_e32 v[188:189], v[6:7], v[52:53]
	v_fma_f64 v[210:211], v[46:47], -0.5, v[30:31]
	v_add_f64_e32 v[46:47], v[12:13], v[76:77]
	v_fma_f64 v[107:108], v[107:108], -0.5, v[32:33]
	v_fma_f64 v[192:193], v[196:197], -0.5, v[38:39]
	s_wait_dscnt 0x0
	v_add_f64_e32 v[38:39], v[60:61], v[48:49]
	v_add_f64_e32 v[196:197], v[58:59], v[109:110]
	v_fma_f64 v[170:171], v[170:171], -0.5, v[34:35]
	v_add_f64_e32 v[34:35], v[68:69], v[8:9]
	v_add_f64_e32 v[190:191], v[4:5], v[180:181]
	v_fma_f64 v[178:179], v[178:179], -0.5, v[36:37]
	v_add_f64_e32 v[214:215], v[66:67], v[174:175]
	v_fma_f64 v[194:195], v[198:199], -0.5, v[40:41]
	v_add_f64_e64 v[88:89], v[162:163], -v[166:167]
	v_add_f64_e64 v[160:161], v[160:161], -v[164:165]
	v_add_f64_e64 v[162:163], v[42:43], -v[72:73]
	v_add_f64_e64 v[168:169], v[168:169], -v[172:173]
	v_add_f64_e64 v[224:225], v[109:110], -v[50:51]
	v_fma_f64 v[109:110], v[202:203], -0.5, v[14:15]
	v_fma_f64 v[202:203], v[204:205], -0.5, v[16:17]
	v_add_f64_e64 v[198:199], v[76:77], -v[70:71]
	v_add_f64_e64 v[216:217], v[74:75], -v[78:79]
	v_add_f64_e32 v[32:33], v[144:145], v[72:73]
	v_fma_f64 v[144:145], v[176:177], -0.5, v[10:11]
	v_fma_f64 v[12:13], v[200:201], -0.5, v[12:13]
	v_add_f64_e64 v[218:219], v[8:9], -v[56:57]
	v_add_f64_e64 v[174:175], v[174:175], -v[62:63]
	v_add_f64_e32 v[30:31], v[146:147], v[172:173]
	v_add_f64_e32 v[8:9], v[212:213], v[78:79]
	v_fma_f64 v[78:79], v[136:137], -0.5, v[66:67]
	v_fma_f64 v[146:147], v[138:139], -0.5, v[68:69]
	v_add_f64_e64 v[220:221], v[52:53], -v[44:45]
	v_add_f64_e64 v[180:181], v[180:181], -v[54:55]
	v_add_f64_e32 v[16:17], v[206:207], v[166:167]
	v_add_f64_e32 v[14:15], v[208:209], v[164:165]
	v_fma_f64 v[164:165], v[148:149], -0.5, v[4:5]
	v_fma_f64 v[166:167], v[150:151], -0.5, v[6:7]
	v_add_f64_e64 v[222:223], v[48:49], -v[64:65]
	v_fma_f64 v[172:173], v[156:157], -0.5, v[58:59]
	v_fma_f64 v[176:177], v[158:159], -0.5, v[60:61]
	v_add_f64_e32 v[6:7], v[188:189], v[44:45]
	v_fma_f64 v[42:43], v[186:187], s[2:3], v[90:91]
	v_fma_f64 v[44:45], v[94:95], s[6:7], v[92:93]
	v_add_f64_e32 v[10:11], v[46:47], v[70:71]
	v_fma_f64 v[46:47], v[186:187], s[6:7], v[90:91]
	v_fma_f64 v[48:49], v[94:95], s[2:3], v[92:93]
	v_add_f64_e32 v[40:41], v[38:39], v[64:65]
	v_add_f64_e32 v[38:39], v[196:197], v[50:51]
	v_fma_f64 v[50:51], v[134:135], s[2:3], v[210:211]
	v_fma_f64 v[52:53], v[132:133], s[6:7], v[107:108]
	v_add_f64_e32 v[36:37], v[34:35], v[56:57]
	v_add_f64_e32 v[4:5], v[190:191], v[54:55]
	v_fma_f64 v[54:55], v[134:135], s[6:7], v[210:211]
	v_fma_f64 v[56:57], v[132:133], s[2:3], v[107:108]
	;; [unrolled: 1-line block ×4, first 2 shown]
	v_add_f64_e32 v[34:35], v[214:215], v[62:63]
	v_fma_f64 v[62:63], v[142:143], s[6:7], v[170:171]
	v_fma_f64 v[64:65], v[140:141], s[2:3], v[178:179]
	;; [unrolled: 1-line block ×30, first 2 shown]
	v_lshl_add_u32 v12, v87, 4, 0
	v_lshl_add_u32 v13, v86, 4, 0
	;; [unrolled: 1-line block ×3, first 2 shown]
	v_add3_u32 v79, 0, v84, v111
	global_wb scope:SCOPE_SE
	s_barrier_signal -1
	s_barrier_wait -1
	global_inv scope:SCOPE_SE
	ds_store_b128 v127, v[18:21]
	ds_store_b128 v127, v[42:45] offset:7200
	ds_store_b128 v127, v[46:49] offset:14400
	ds_store_b128 v102, v[22:25]
	ds_store_b128 v102, v[50:53] offset:7200
	ds_store_b128 v102, v[54:57] offset:14400
	;; [unrolled: 3-line block ×4, first 2 shown]
	ds_store_b128 v127, v[14:17] offset:23040
	ds_store_b128 v127, v[30:33] offset:25200
	;; [unrolled: 1-line block ×6, first 2 shown]
	ds_store_b128 v79, v[8:11]
	ds_store_b128 v79, v[132:135] offset:7200
	ds_store_b128 v79, v[136:139] offset:14400
	;; [unrolled: 1-line block ×11, first 2 shown]
	global_wb scope:SCOPE_SE
	s_wait_dscnt 0x0
	s_barrier_signal -1
	s_barrier_wait -1
	global_inv scope:SCOPE_SE
	s_clause 0x1
	global_load_b128 v[4:7], v[98:99], off offset:21440
	global_load_b128 v[0:3], v[98:99], off offset:21456
	v_lshlrev_b32_e32 v96, 1, v124
	s_clause 0x3
	global_load_b128 v[12:15], v[82:83], off offset:21440
	global_load_b128 v[16:19], v[82:83], off offset:21456
	global_load_b128 v[20:23], v[80:81], off offset:21440
	global_load_b128 v[26:29], v[80:81], off offset:21456
	v_lshlrev_b64_e32 v[8:9], 4, v[96:97]
	v_lshlrev_b32_e32 v96, 1, v123
	s_delay_alu instid0(VALU_DEP_2) | instskip(NEXT) | instid1(VALU_DEP_2)
	v_add_co_u32 v8, s0, s4, v8
	v_lshlrev_b64_e32 v[10:11], 4, v[96:97]
	s_wait_alu 0xf1ff
	s_delay_alu instid0(VALU_DEP_4)
	v_add_co_ci_u32_e64 v9, s0, s5, v9, s0
	v_lshlrev_b32_e32 v96, 1, v122
	s_clause 0x1
	global_load_b128 v[30:33], v[8:9], off offset:21440
	global_load_b128 v[34:37], v[8:9], off offset:21456
	v_add_co_u32 v8, s0, s4, v10
	s_wait_alu 0xf1ff
	v_add_co_ci_u32_e64 v9, s0, s5, v11, s0
	v_lshlrev_b64_e32 v[24:25], 4, v[96:97]
	v_lshlrev_b32_e32 v96, 1, v121
	s_clause 0x1
	global_load_b128 v[38:41], v[8:9], off offset:21440
	global_load_b128 v[42:45], v[8:9], off offset:21456
	v_lshlrev_b64_e32 v[10:11], 4, v[96:97]
	v_lshlrev_b32_e32 v96, 1, v120
	v_add_co_u32 v24, s0, s4, v24
	s_wait_alu 0xf1ff
	v_add_co_ci_u32_e64 v25, s0, s5, v25, s0
	s_delay_alu instid0(VALU_DEP_3) | instskip(SKIP_4) | instid1(VALU_DEP_3)
	v_lshlrev_b64_e32 v[54:55], 4, v[96:97]
	v_lshlrev_b32_e32 v96, 1, v119
	v_add_co_u32 v10, s0, s4, v10
	s_wait_alu 0xf1ff
	v_add_co_ci_u32_e64 v11, s0, s5, v11, s0
	v_lshlrev_b64_e32 v[8:9], 4, v[96:97]
	v_lshlrev_b32_e32 v96, 1, v116
	s_clause 0x1
	global_load_b128 v[46:49], v[24:25], off offset:21440
	global_load_b128 v[50:53], v[24:25], off offset:21456
	v_add_co_u32 v24, s0, s4, v54
	s_wait_alu 0xf1ff
	v_add_co_ci_u32_e64 v25, s0, s5, v55, s0
	s_clause 0x1
	global_load_b128 v[54:57], v[10:11], off offset:21440
	global_load_b128 v[58:61], v[10:11], off offset:21456
	v_lshlrev_b64_e32 v[10:11], 4, v[96:97]
	v_add_co_u32 v8, s0, s4, v8
	s_wait_alu 0xf1ff
	v_add_co_ci_u32_e64 v9, s0, s5, v9, s0
	s_clause 0x2
	global_load_b128 v[62:65], v[24:25], off offset:21440
	global_load_b128 v[66:69], v[24:25], off offset:21456
	;; [unrolled: 1-line block ×3, first 2 shown]
	v_add_co_u32 v10, s0, s4, v10
	s_wait_alu 0xf1ff
	v_add_co_ci_u32_e64 v11, s0, s5, v11, s0
	s_clause 0x2
	global_load_b128 v[74:77], v[8:9], off offset:21456
	global_load_b128 v[78:81], v[10:11], off offset:21440
	;; [unrolled: 1-line block ×3, first 2 shown]
	ds_load_b128 v[86:89], v127 offset:21600
	ds_load_b128 v[90:93], v127 offset:43200
	;; [unrolled: 1-line block ×5, first 2 shown]
	ds_load_b128 v[8:11], v127
	ds_load_b128 v[140:143], v127 offset:47520
	ds_load_b128 v[148:151], v127 offset:49680
	;; [unrolled: 1-line block ×9, first 2 shown]
	s_wait_loadcnt_dscnt 0x130e
	v_mul_f64_e32 v[24:25], v[88:89], v[6:7]
	v_mul_f64_e32 v[6:7], v[86:87], v[6:7]
	s_wait_loadcnt_dscnt 0x120d
	v_mul_f64_e32 v[94:95], v[92:93], v[2:3]
	v_mul_f64_e32 v[2:3], v[90:91], v[2:3]
	;; [unrolled: 3-line block ×5, first 2 shown]
	v_mul_f64_e32 v[22:23], v[136:137], v[22:23]
	v_mul_f64_e32 v[194:195], v[140:141], v[28:29]
	s_wait_loadcnt_dscnt 0xd06
	v_mul_f64_e32 v[196:197], v[146:147], v[32:33]
	v_mul_f64_e32 v[32:33], v[144:145], v[32:33]
	s_wait_loadcnt 0xc
	v_mul_f64_e32 v[198:199], v[150:151], v[36:37]
	v_mul_f64_e32 v[36:37], v[148:149], v[36:37]
	s_wait_loadcnt_dscnt 0xb05
	v_mul_f64_e32 v[204:205], v[154:155], v[40:41]
	v_mul_f64_e32 v[40:41], v[152:153], v[40:41]
	v_fma_f64 v[200:201], v[86:87], v[4:5], -v[24:25]
	v_fma_f64 v[202:203], v[88:89], v[4:5], v[6:7]
	ds_load_b128 v[86:89], v127 offset:56160
	ds_load_b128 v[176:179], v127 offset:58320
	v_fma_f64 v[94:95], v[90:91], v[0:1], -v[94:95]
	v_fma_f64 v[206:207], v[92:93], v[0:1], v[2:3]
	ds_load_b128 v[90:93], v127 offset:38880
	ds_load_b128 v[180:183], v127 offset:41040
	;; [unrolled: 4-line block ×3, first 2 shown]
	s_wait_loadcnt_dscnt 0xa0a
	v_mul_f64_e32 v[12:13], v[158:159], v[44:45]
	v_mul_f64_e32 v[14:15], v[156:157], v[44:45]
	v_fma_f64 v[24:25], v[132:133], v[16:17], -v[188:189]
	s_wait_loadcnt_dscnt 0x908
	v_mul_f64_e32 v[44:45], v[166:167], v[48:49]
	v_mul_f64_e32 v[48:49], v[164:165], v[48:49]
	s_wait_loadcnt 0x8
	v_mul_f64_e32 v[132:133], v[162:163], v[52:53]
	v_mul_f64_e32 v[52:53], v[160:161], v[52:53]
	v_fma_f64 v[28:29], v[134:135], v[16:17], v[18:19]
	v_fma_f64 v[16:17], v[140:141], v[26:27], -v[192:193]
	s_wait_loadcnt_dscnt 0x707
	v_mul_f64_e32 v[134:135], v[170:171], v[56:57]
	v_mul_f64_e32 v[56:57], v[168:169], v[56:57]
	v_fma_f64 v[136:137], v[136:137], v[20:21], -v[190:191]
	s_wait_loadcnt_dscnt 0x605
	v_mul_f64_e32 v[140:141], v[88:89], v[60:61]
	v_mul_f64_e32 v[60:61], v[86:87], v[60:61]
	v_fma_f64 v[138:139], v[138:139], v[20:21], v[22:23]
	v_fma_f64 v[20:21], v[142:143], v[26:27], v[194:195]
	v_fma_f64 v[18:19], v[144:145], v[30:31], -v[196:197]
	v_fma_f64 v[142:143], v[146:147], v[30:31], v[32:33]
	s_wait_loadcnt 0x5
	v_mul_f64_e32 v[144:145], v[174:175], v[64:65]
	v_mul_f64_e32 v[64:65], v[172:173], v[64:65]
	s_wait_loadcnt_dscnt 0x404
	v_mul_f64_e32 v[146:147], v[178:179], v[68:69]
	v_mul_f64_e32 v[68:69], v[176:177], v[68:69]
	v_fma_f64 v[4:5], v[148:149], v[34:35], -v[198:199]
	v_fma_f64 v[6:7], v[150:151], v[34:35], v[36:37]
	s_wait_loadcnt_dscnt 0x303
	v_mul_f64_e32 v[148:149], v[92:93], v[72:73]
	v_mul_f64_e32 v[72:73], v[90:91], v[72:73]
	s_wait_loadcnt_dscnt 0x201
	v_mul_f64_e32 v[150:151], v[109:110], v[76:77]
	v_mul_f64_e32 v[76:77], v[107:108], v[76:77]
	v_fma_f64 v[22:23], v[152:153], v[38:39], -v[204:205]
	v_fma_f64 v[26:27], v[154:155], v[38:39], v[40:41]
	s_wait_loadcnt 0x1
	v_mul_f64_e32 v[152:153], v[182:183], v[80:81]
	v_mul_f64_e32 v[80:81], v[180:181], v[80:81]
	s_wait_loadcnt_dscnt 0x0
	v_mul_f64_e32 v[154:155], v[186:187], v[84:85]
	v_mul_f64_e32 v[84:85], v[184:185], v[84:85]
	ds_load_b128 v[0:3], v129
	ds_load_b128 v[30:33], v102
	;; [unrolled: 1-line block ×3, first 2 shown]
	v_fma_f64 v[12:13], v[156:157], v[42:43], -v[12:13]
	v_fma_f64 v[14:15], v[158:159], v[42:43], v[14:15]
	v_fma_f64 v[156:157], v[164:165], v[46:47], -v[44:45]
	v_fma_f64 v[158:159], v[166:167], v[46:47], v[48:49]
	;; [unrolled: 2-line block ×3, first 2 shown]
	ds_load_b128 v[38:41], v131
	ds_load_b128 v[42:45], v101
	;; [unrolled: 1-line block ×4, first 2 shown]
	v_fma_f64 v[164:165], v[168:169], v[54:55], -v[134:135]
	v_fma_f64 v[166:167], v[170:171], v[54:55], v[56:57]
	ds_load_b128 v[54:57], v105
	ds_load_b128 v[132:135], v104
	v_fma_f64 v[86:87], v[86:87], v[58:59], -v[140:141]
	v_fma_f64 v[58:59], v[88:89], v[58:59], v[60:61]
	v_add_f64_e32 v[88:89], v[200:201], v[94:95]
	global_wb scope:SCOPE_SE
	s_wait_dscnt 0x0
	v_add_f64_e32 v[140:141], v[32:33], v[208:209]
	v_add_f64_e32 v[168:169], v[36:37], v[138:139]
	v_fma_f64 v[60:61], v[172:173], v[62:63], -v[144:145]
	v_fma_f64 v[62:63], v[174:175], v[62:63], v[64:65]
	v_fma_f64 v[64:65], v[176:177], v[66:67], -v[146:147]
	v_fma_f64 v[66:67], v[178:179], v[66:67], v[68:69]
	v_add_f64_e32 v[144:145], v[30:31], v[98:99]
	v_add_f64_e32 v[172:173], v[18:19], v[4:5]
	v_fma_f64 v[68:69], v[90:91], v[70:71], -v[148:149]
	v_fma_f64 v[70:71], v[92:93], v[70:71], v[72:73]
	v_fma_f64 v[72:73], v[107:108], v[74:75], -v[150:151]
	v_fma_f64 v[74:75], v[109:110], v[74:75], v[76:77]
	v_add_f64_e32 v[90:91], v[202:203], v[206:207]
	v_add_f64_e32 v[92:93], v[10:11], v[202:203]
	;; [unrolled: 1-line block ×4, first 2 shown]
	v_fma_f64 v[76:77], v[180:181], v[78:79], -v[152:153]
	v_fma_f64 v[78:79], v[182:183], v[78:79], v[80:81]
	v_fma_f64 v[80:81], v[184:185], v[82:83], -v[154:155]
	v_fma_f64 v[82:83], v[186:187], v[82:83], v[84:85]
	v_add_f64_e32 v[84:85], v[98:99], v[24:25]
	v_add_f64_e32 v[150:151], v[136:137], v[16:17]
	;; [unrolled: 1-line block ×11, first 2 shown]
	v_add_f64_e64 v[154:155], v[208:209], -v[28:29]
	v_add_f64_e32 v[176:177], v[40:41], v[142:143]
	v_add_f64_e32 v[178:179], v[38:39], v[18:19]
	v_add_f64_e32 v[196:197], v[164:165], v[86:87]
	v_add_f64_e32 v[198:199], v[166:167], v[58:59]
	v_add_f64_e64 v[146:147], v[202:203], -v[206:207]
	v_fma_f64 v[88:89], v[88:89], -0.5, v[8:9]
	v_add_f64_e32 v[184:185], v[44:45], v[26:27]
	v_add_f64_e64 v[148:149], v[200:201], -v[94:95]
	v_add_f64_e64 v[98:99], v[98:99], -v[24:25]
	;; [unrolled: 1-line block ×3, first 2 shown]
	v_add_f64_e32 v[204:205], v[60:61], v[64:65]
	v_add_f64_e32 v[208:209], v[62:63], v[66:67]
	v_add_f64_e64 v[136:137], v[136:137], -v[16:17]
	v_add_f64_e32 v[200:201], v[2:3], v[166:167]
	v_add_f64_e64 v[142:143], v[142:143], -v[6:7]
	v_add_f64_e64 v[210:211], v[18:19], -v[4:5]
	;; [unrolled: 1-line block ×4, first 2 shown]
	v_fma_f64 v[90:91], v[90:91], -0.5, v[10:11]
	v_add_f64_e32 v[10:11], v[92:93], v[206:207]
	v_add_f64_e32 v[8:9], v[107:108], v[94:95]
	v_fma_f64 v[107:108], v[109:110], -0.5, v[32:33]
	v_add_f64_e32 v[109:110], v[68:69], v[72:73]
	v_add_f64_e32 v[206:207], v[70:71], v[74:75]
	;; [unrolled: 1-line block ×4, first 2 shown]
	v_fma_f64 v[84:85], v[84:85], -0.5, v[30:31]
	v_add_f64_e32 v[30:31], v[140:141], v[28:29]
	v_add_f64_e32 v[28:29], v[144:145], v[24:25]
	v_fma_f64 v[144:145], v[150:151], -0.5, v[34:35]
	v_fma_f64 v[150:151], v[152:153], -0.5, v[36:37]
	v_add_f64_e32 v[36:37], v[76:77], v[80:81]
	v_add_f64_e32 v[152:153], v[78:79], v[82:83]
	;; [unrolled: 1-line block ×4, first 2 shown]
	v_fma_f64 v[68:69], v[172:173], -0.5, v[38:39]
	v_fma_f64 v[70:71], v[174:175], -0.5, v[40:41]
	v_add_f64_e32 v[34:35], v[168:169], v[20:21]
	v_add_f64_e32 v[32:33], v[170:171], v[16:17]
	;; [unrolled: 1-line block ×4, first 2 shown]
	v_add_f64_e64 v[212:213], v[26:27], -v[14:15]
	v_add_f64_e64 v[214:215], v[22:23], -v[12:13]
	;; [unrolled: 1-line block ×4, first 2 shown]
	v_fma_f64 v[76:77], v[180:181], -0.5, v[42:43]
	v_fma_f64 v[78:79], v[182:183], -0.5, v[44:45]
	v_add_f64_e32 v[186:187], v[42:43], v[22:23]
	v_add_f64_e64 v[158:159], v[158:159], -v[162:163]
	v_add_f64_e64 v[156:157], v[156:157], -v[160:161]
	v_fma_f64 v[172:173], v[188:189], -0.5, v[46:47]
	v_fma_f64 v[174:175], v[190:191], -0.5, v[48:49]
	v_add_f64_e32 v[202:203], v[0:1], v[164:165]
	v_add_f64_e64 v[166:167], v[166:167], -v[58:59]
	v_add_f64_e64 v[164:165], v[164:165], -v[86:87]
	v_add_f64_e32 v[18:19], v[192:193], v[162:163]
	v_add_f64_e32 v[16:17], v[194:195], v[160:161]
	v_fma_f64 v[160:161], v[196:197], -0.5, v[0:1]
	v_fma_f64 v[162:163], v[198:199], -0.5, v[2:3]
	v_add_f64_e64 v[216:217], v[62:63], -v[66:67]
	v_add_f64_e64 v[218:219], v[60:61], -v[64:65]
	v_add_f64_e32 v[6:7], v[176:177], v[6:7]
	v_add_f64_e32 v[4:5], v[178:179], v[4:5]
	v_fma_f64 v[176:177], v[204:205], -0.5, v[50:51]
	v_fma_f64 v[178:179], v[208:209], -0.5, v[52:53]
	;; [unrolled: 1-line block ×4, first 2 shown]
	v_add_f64_e32 v[14:15], v[184:185], v[14:15]
	v_fma_f64 v[40:41], v[146:147], s[2:3], v[88:89]
	v_fma_f64 v[184:185], v[36:37], -0.5, v[132:133]
	v_fma_f64 v[152:153], v[152:153], -0.5, v[134:135]
	v_fma_f64 v[42:43], v[148:149], s[6:7], v[90:91]
	v_fma_f64 v[44:45], v[146:147], s[6:7], v[88:89]
	;; [unrolled: 1-line block ×7, first 2 shown]
	v_add_f64_e32 v[2:3], v[200:201], v[58:59]
	v_fma_f64 v[56:57], v[138:139], s[2:3], v[144:145]
	v_fma_f64 v[58:59], v[136:137], s[6:7], v[150:151]
	;; [unrolled: 1-line block ×4, first 2 shown]
	v_add_f64_e32 v[22:23], v[92:93], v[66:67]
	v_add_f64_e32 v[20:21], v[94:95], v[64:65]
	v_fma_f64 v[64:65], v[142:143], s[2:3], v[68:69]
	v_fma_f64 v[66:67], v[210:211], s[6:7], v[70:71]
	;; [unrolled: 1-line block ×4, first 2 shown]
	v_add_f64_e32 v[26:27], v[24:25], v[74:75]
	v_add_f64_e32 v[24:25], v[140:141], v[72:73]
	v_fma_f64 v[72:73], v[212:213], s[2:3], v[76:77]
	v_fma_f64 v[74:75], v[214:215], s[6:7], v[78:79]
	v_add_f64_e32 v[12:13], v[186:187], v[12:13]
	v_fma_f64 v[76:77], v[212:213], s[6:7], v[76:77]
	v_fma_f64 v[78:79], v[214:215], s[2:3], v[78:79]
	v_add_f64_e32 v[38:39], v[168:169], v[82:83]
	v_add_f64_e32 v[36:37], v[170:171], v[80:81]
	v_fma_f64 v[80:81], v[158:159], s[2:3], v[172:173]
	v_fma_f64 v[82:83], v[156:157], s[6:7], v[174:175]
	v_add_f64_e32 v[0:1], v[202:203], v[86:87]
	v_fma_f64 v[84:85], v[158:159], s[6:7], v[172:173]
	v_fma_f64 v[86:87], v[156:157], s[2:3], v[174:175]
	;; [unrolled: 1-line block ×18, first 2 shown]
	s_barrier_signal -1
	s_barrier_wait -1
	global_inv scope:SCOPE_SE
	ds_store_b128 v127, v[40:43] offset:21600
	ds_store_b128 v127, v[8:11]
	ds_store_b128 v127, v[44:47] offset:43200
	ds_store_b128 v102, v[48:51] offset:21600
	ds_store_b128 v102, v[28:31]
	ds_store_b128 v102, v[52:55] offset:43200
	ds_store_b128 v103, v[56:59] offset:21600
	ds_store_b128 v103, v[32:35]
	ds_store_b128 v103, v[60:63] offset:43200
	ds_store_b128 v131, v[64:67] offset:21600
	ds_store_b128 v131, v[4:7]
	ds_store_b128 v131, v[68:71] offset:43200
	ds_store_b128 v101, v[72:75] offset:21600
	ds_store_b128 v101, v[12:15]
	ds_store_b128 v101, v[76:79] offset:43200
	ds_store_b128 v100, v[80:83] offset:21600
	ds_store_b128 v100, v[16:19]
	ds_store_b128 v100, v[84:87] offset:43200
	ds_store_b128 v129, v[88:91] offset:21600
	ds_store_b128 v129, v[0:3]
	ds_store_b128 v129, v[92:95] offset:43200
	ds_store_b128 v106, v[107:110] offset:21600
	ds_store_b128 v106, v[20:23]
	ds_store_b128 v106, v[132:135] offset:43200
	ds_store_b128 v105, v[136:139] offset:21600
	ds_store_b128 v105, v[24:27]
	ds_store_b128 v105, v[140:143] offset:43200
	ds_store_b128 v104, v[144:147] offset:21600
	ds_store_b128 v104, v[36:39]
	ds_store_b128 v104, v[148:151] offset:43200
	global_wb scope:SCOPE_SE
	s_wait_dscnt 0x0
	s_barrier_signal -1
	s_barrier_wait -1
	global_inv scope:SCOPE_SE
	ds_load_b128 v[4:7], v127
	v_sub_nc_u32_e32 v12, 0, v113
                                        ; implicit-def: $vgpr2_vgpr3
                                        ; implicit-def: $vgpr10_vgpr11
                                        ; implicit-def: $vgpr8_vgpr9
	v_cmpx_ne_u32_e32 0, v112
	s_xor_b32 s1, exec_lo, s1
	s_cbranch_execz .LBB0_15
; %bb.14:
	v_mov_b32_e32 v113, v97
	s_delay_alu instid0(VALU_DEP_1) | instskip(NEXT) | instid1(VALU_DEP_1)
	v_lshlrev_b64_e32 v[0:1], 4, v[112:113]
	v_add_co_u32 v0, s0, s4, v0
	s_wait_alu 0xf1ff
	s_delay_alu instid0(VALU_DEP_2)
	v_add_co_ci_u32_e64 v1, s0, s5, v1, s0
	global_load_b128 v[8:11], v[0:1], off offset:64640
	ds_load_b128 v[0:3], v12 offset:64800
	s_wait_dscnt 0x0
	v_add_f64_e64 v[13:14], v[4:5], -v[0:1]
	v_add_f64_e32 v[15:16], v[6:7], v[2:3]
	v_add_f64_e64 v[2:3], v[6:7], -v[2:3]
	v_add_f64_e32 v[0:1], v[4:5], v[0:1]
	s_delay_alu instid0(VALU_DEP_4) | instskip(NEXT) | instid1(VALU_DEP_4)
	v_mul_f64_e32 v[6:7], 0.5, v[13:14]
	v_mul_f64_e32 v[4:5], 0.5, v[15:16]
	s_delay_alu instid0(VALU_DEP_4) | instskip(SKIP_1) | instid1(VALU_DEP_3)
	v_mul_f64_e32 v[2:3], 0.5, v[2:3]
	s_wait_loadcnt 0x0
	v_mul_f64_e32 v[13:14], v[6:7], v[10:11]
	s_delay_alu instid0(VALU_DEP_2) | instskip(SKIP_1) | instid1(VALU_DEP_3)
	v_fma_f64 v[15:16], v[4:5], v[10:11], v[2:3]
	v_fma_f64 v[2:3], v[4:5], v[10:11], -v[2:3]
	v_fma_f64 v[17:18], v[0:1], 0.5, v[13:14]
	v_fma_f64 v[0:1], v[0:1], 0.5, -v[13:14]
	s_delay_alu instid0(VALU_DEP_4) | instskip(NEXT) | instid1(VALU_DEP_4)
	v_fma_f64 v[10:11], -v[8:9], v[6:7], v[15:16]
	v_fma_f64 v[2:3], -v[8:9], v[6:7], v[2:3]
	s_delay_alu instid0(VALU_DEP_4) | instskip(NEXT) | instid1(VALU_DEP_4)
	v_fma_f64 v[13:14], v[4:5], v[8:9], v[17:18]
	v_fma_f64 v[0:1], -v[4:5], v[8:9], v[0:1]
	v_dual_mov_b32 v8, v112 :: v_dual_mov_b32 v9, v113
                                        ; implicit-def: $vgpr4_vgpr5
	ds_store_b64 v127, v[13:14]
.LBB0_15:
	s_wait_alu 0xfffe
	s_or_saveexec_b32 s0, s1
	v_mul_i32_i24_e32 v14, 0xffffff70, v117
	v_mul_i32_i24_e32 v13, 0xffffff70, v125
	s_wait_alu 0xfffe
	s_xor_b32 exec_lo, exec_lo, s0
	s_cbranch_execz .LBB0_17
; %bb.16:
	s_wait_dscnt 0x0
	v_add_f64_e32 v[15:16], v[4:5], v[6:7]
	v_add_f64_e64 v[0:1], v[4:5], -v[6:7]
	v_mov_b32_e32 v6, 0
	v_mov_b32_e32 v10, 0
	v_dual_mov_b32 v11, 0 :: v_dual_mov_b32 v8, 0
	s_delay_alu instid0(VALU_DEP_2)
	v_mov_b32_e32 v2, v10
	ds_load_b64 v[4:5], v6 offset:32408
	v_mov_b32_e32 v9, 0
	v_mov_b32_e32 v3, v11
	s_wait_dscnt 0x0
	v_xor_b32_e32 v5, 0x80000000, v5
	ds_store_b64 v127, v[15:16]
	ds_store_b64 v6, v[4:5] offset:32408
.LBB0_17:
	s_or_b32 exec_lo, exec_lo, s0
	v_mov_b32_e32 v118, 0
	v_add_nc_u32_e32 v14, v130, v14
	s_wait_dscnt 0x0
	s_delay_alu instid0(VALU_DEP_2) | instskip(SKIP_1) | instid1(VALU_DEP_1)
	v_lshlrev_b64_e32 v[4:5], 4, v[117:118]
	v_mov_b32_e32 v126, v118
	v_lshlrev_b64_e32 v[15:16], 4, v[125:126]
	s_delay_alu instid0(VALU_DEP_3) | instskip(SKIP_1) | instid1(VALU_DEP_4)
	v_add_co_u32 v4, s0, s4, v4
	s_wait_alu 0xf1ff
	v_add_co_ci_u32_e64 v5, s0, s5, v5, s0
	s_delay_alu instid0(VALU_DEP_3)
	v_add_co_u32 v15, s0, s4, v15
	global_load_b128 v[4:7], v[4:5], off offset:64640
	s_wait_alu 0xf1ff
	v_add_co_ci_u32_e64 v16, s0, s5, v16, s0
	global_load_b128 v[15:18], v[15:16], off offset:64640
	ds_store_b64 v127, v[10:11] offset:8
	ds_store_b128 v12, v[0:3] offset:64800
	ds_load_b128 v[0:3], v14
	ds_load_b128 v[19:22], v12 offset:62640
	s_wait_dscnt 0x0
	v_add_f64_e64 v[10:11], v[0:1], -v[19:20]
	v_add_f64_e32 v[23:24], v[2:3], v[21:22]
	v_add_f64_e64 v[2:3], v[2:3], -v[21:22]
	v_add_f64_e32 v[0:1], v[0:1], v[19:20]
	s_delay_alu instid0(VALU_DEP_4) | instskip(NEXT) | instid1(VALU_DEP_4)
	v_mul_f64_e32 v[10:11], 0.5, v[10:11]
	v_mul_f64_e32 v[21:22], 0.5, v[23:24]
	s_delay_alu instid0(VALU_DEP_4) | instskip(SKIP_1) | instid1(VALU_DEP_3)
	v_mul_f64_e32 v[2:3], 0.5, v[2:3]
	s_wait_loadcnt 0x1
	v_mul_f64_e32 v[19:20], v[10:11], v[6:7]
	s_delay_alu instid0(VALU_DEP_2) | instskip(SKIP_1) | instid1(VALU_DEP_3)
	v_fma_f64 v[23:24], v[21:22], v[6:7], v[2:3]
	v_fma_f64 v[6:7], v[21:22], v[6:7], -v[2:3]
	v_fma_f64 v[25:26], v[0:1], 0.5, v[19:20]
	v_fma_f64 v[19:20], v[0:1], 0.5, -v[19:20]
	s_delay_alu instid0(VALU_DEP_4) | instskip(NEXT) | instid1(VALU_DEP_4)
	v_fma_f64 v[2:3], -v[4:5], v[10:11], v[23:24]
	v_fma_f64 v[6:7], -v[4:5], v[10:11], v[6:7]
	s_delay_alu instid0(VALU_DEP_4) | instskip(NEXT) | instid1(VALU_DEP_4)
	v_fma_f64 v[0:1], v[21:22], v[4:5], v[25:26]
	v_fma_f64 v[4:5], -v[21:22], v[4:5], v[19:20]
	v_add_nc_u32_e32 v25, v128, v13
	v_mov_b32_e32 v125, v118
	v_mov_b32_e32 v117, v118
	s_delay_alu instid0(VALU_DEP_2) | instskip(SKIP_1) | instid1(VALU_DEP_2)
	v_lshlrev_b64_e32 v[10:11], 4, v[124:125]
	v_mov_b32_e32 v124, v118
	v_add_co_u32 v10, s0, s4, v10
	s_wait_alu 0xf1ff
	s_delay_alu instid0(VALU_DEP_3)
	v_add_co_ci_u32_e64 v11, s0, s5, v11, s0
	global_load_b128 v[19:22], v[10:11], off offset:64640
	ds_store_b128 v14, v[0:3]
	ds_store_b128 v12, v[4:7] offset:62640
	ds_load_b128 v[0:3], v25
	ds_load_b128 v[4:7], v12 offset:60480
	s_wait_dscnt 0x0
	v_add_f64_e64 v[10:11], v[0:1], -v[4:5]
	v_add_f64_e32 v[13:14], v[2:3], v[6:7]
	v_add_f64_e64 v[2:3], v[2:3], -v[6:7]
	v_add_f64_e32 v[0:1], v[0:1], v[4:5]
	s_delay_alu instid0(VALU_DEP_4) | instskip(NEXT) | instid1(VALU_DEP_4)
	v_mul_f64_e32 v[6:7], 0.5, v[10:11]
	v_mul_f64_e32 v[10:11], 0.5, v[13:14]
	s_delay_alu instid0(VALU_DEP_4) | instskip(SKIP_1) | instid1(VALU_DEP_3)
	v_mul_f64_e32 v[2:3], 0.5, v[2:3]
	s_wait_loadcnt 0x1
	v_mul_f64_e32 v[4:5], v[6:7], v[17:18]
	s_delay_alu instid0(VALU_DEP_2) | instskip(SKIP_1) | instid1(VALU_DEP_3)
	v_fma_f64 v[13:14], v[10:11], v[17:18], v[2:3]
	v_fma_f64 v[17:18], v[10:11], v[17:18], -v[2:3]
	v_fma_f64 v[23:24], v[0:1], 0.5, v[4:5]
	v_fma_f64 v[4:5], v[0:1], 0.5, -v[4:5]
	s_delay_alu instid0(VALU_DEP_4) | instskip(NEXT) | instid1(VALU_DEP_4)
	v_fma_f64 v[2:3], -v[15:16], v[6:7], v[13:14]
	v_fma_f64 v[6:7], -v[15:16], v[6:7], v[17:18]
	s_delay_alu instid0(VALU_DEP_4) | instskip(NEXT) | instid1(VALU_DEP_4)
	v_fma_f64 v[0:1], v[10:11], v[15:16], v[23:24]
	v_fma_f64 v[4:5], -v[10:11], v[15:16], v[4:5]
	v_lshlrev_b64_e32 v[10:11], 4, v[123:124]
	v_mov_b32_e32 v123, v118
	s_delay_alu instid0(VALU_DEP_2) | instskip(SKIP_1) | instid1(VALU_DEP_3)
	v_add_co_u32 v10, s0, s4, v10
	s_wait_alu 0xf1ff
	v_add_co_ci_u32_e64 v11, s0, s5, v11, s0
	global_load_b128 v[13:16], v[10:11], off offset:64640
	ds_store_b128 v25, v[0:3]
	ds_store_b128 v12, v[4:7] offset:60480
	ds_load_b128 v[0:3], v131
	ds_load_b128 v[4:7], v12 offset:58320
	s_wait_dscnt 0x0
	v_add_f64_e64 v[10:11], v[0:1], -v[4:5]
	v_add_f64_e32 v[17:18], v[2:3], v[6:7]
	v_add_f64_e64 v[2:3], v[2:3], -v[6:7]
	v_add_f64_e32 v[0:1], v[0:1], v[4:5]
	s_delay_alu instid0(VALU_DEP_4) | instskip(NEXT) | instid1(VALU_DEP_4)
	v_mul_f64_e32 v[6:7], 0.5, v[10:11]
	v_mul_f64_e32 v[10:11], 0.5, v[17:18]
	s_delay_alu instid0(VALU_DEP_4) | instskip(SKIP_1) | instid1(VALU_DEP_3)
	v_mul_f64_e32 v[2:3], 0.5, v[2:3]
	s_wait_loadcnt 0x1
	v_mul_f64_e32 v[4:5], v[6:7], v[21:22]
	s_delay_alu instid0(VALU_DEP_2) | instskip(SKIP_1) | instid1(VALU_DEP_3)
	v_fma_f64 v[17:18], v[10:11], v[21:22], v[2:3]
	v_fma_f64 v[21:22], v[10:11], v[21:22], -v[2:3]
	v_fma_f64 v[23:24], v[0:1], 0.5, v[4:5]
	v_fma_f64 v[4:5], v[0:1], 0.5, -v[4:5]
	s_delay_alu instid0(VALU_DEP_4) | instskip(NEXT) | instid1(VALU_DEP_4)
	v_fma_f64 v[2:3], -v[19:20], v[6:7], v[17:18]
	v_fma_f64 v[6:7], -v[19:20], v[6:7], v[21:22]
	s_delay_alu instid0(VALU_DEP_4) | instskip(NEXT) | instid1(VALU_DEP_4)
	v_fma_f64 v[0:1], v[10:11], v[19:20], v[23:24]
	v_fma_f64 v[4:5], -v[10:11], v[19:20], v[4:5]
	v_lshlrev_b64_e32 v[10:11], 4, v[122:123]
	v_mov_b32_e32 v122, v118
	s_delay_alu instid0(VALU_DEP_2) | instskip(SKIP_1) | instid1(VALU_DEP_3)
	v_add_co_u32 v10, s0, s4, v10
	s_wait_alu 0xf1ff
	;; [unrolled: 34-line block ×4, first 2 shown]
	v_add_co_ci_u32_e64 v11, s0, s5, v11, s0
	global_load_b128 v[17:20], v[10:11], off offset:64640
	ds_store_b128 v100, v[0:3]
	ds_store_b128 v12, v[4:7] offset:54000
	ds_load_b128 v[0:3], v129
	ds_load_b128 v[4:7], v12 offset:51840
	s_wait_dscnt 0x0
	v_add_f64_e64 v[10:11], v[0:1], -v[4:5]
	v_add_f64_e32 v[21:22], v[2:3], v[6:7]
	v_add_f64_e64 v[2:3], v[2:3], -v[6:7]
	v_add_f64_e32 v[0:1], v[0:1], v[4:5]
	s_delay_alu instid0(VALU_DEP_4) | instskip(NEXT) | instid1(VALU_DEP_4)
	v_mul_f64_e32 v[6:7], 0.5, v[10:11]
	v_mul_f64_e32 v[10:11], 0.5, v[21:22]
	s_delay_alu instid0(VALU_DEP_4) | instskip(SKIP_1) | instid1(VALU_DEP_3)
	v_mul_f64_e32 v[2:3], 0.5, v[2:3]
	s_wait_loadcnt 0x1
	v_mul_f64_e32 v[4:5], v[6:7], v[15:16]
	s_delay_alu instid0(VALU_DEP_2) | instskip(SKIP_1) | instid1(VALU_DEP_3)
	v_fma_f64 v[21:22], v[10:11], v[15:16], v[2:3]
	v_fma_f64 v[15:16], v[10:11], v[15:16], -v[2:3]
	v_fma_f64 v[23:24], v[0:1], 0.5, v[4:5]
	v_fma_f64 v[4:5], v[0:1], 0.5, -v[4:5]
	s_delay_alu instid0(VALU_DEP_4) | instskip(NEXT) | instid1(VALU_DEP_4)
	v_fma_f64 v[2:3], -v[13:14], v[6:7], v[21:22]
	v_fma_f64 v[6:7], -v[13:14], v[6:7], v[15:16]
	s_delay_alu instid0(VALU_DEP_4) | instskip(NEXT) | instid1(VALU_DEP_4)
	v_fma_f64 v[0:1], v[10:11], v[13:14], v[23:24]
	v_fma_f64 v[4:5], -v[10:11], v[13:14], v[4:5]
	v_lshlrev_b64_e32 v[10:11], 4, v[119:120]
	s_delay_alu instid0(VALU_DEP_1) | instskip(SKIP_1) | instid1(VALU_DEP_2)
	v_add_co_u32 v10, s0, s4, v10
	s_wait_alu 0xf1ff
	v_add_co_ci_u32_e64 v11, s0, s5, v11, s0
	global_load_b128 v[13:16], v[10:11], off offset:64640
	ds_store_b128 v129, v[0:3]
	ds_store_b128 v12, v[4:7] offset:51840
	ds_load_b128 v[0:3], v106
	ds_load_b128 v[4:7], v12 offset:49680
	s_wait_dscnt 0x0
	v_add_f64_e64 v[10:11], v[0:1], -v[4:5]
	v_add_f64_e32 v[21:22], v[2:3], v[6:7]
	v_add_f64_e64 v[2:3], v[2:3], -v[6:7]
	v_add_f64_e32 v[0:1], v[0:1], v[4:5]
	s_delay_alu instid0(VALU_DEP_4) | instskip(NEXT) | instid1(VALU_DEP_4)
	v_mul_f64_e32 v[6:7], 0.5, v[10:11]
	v_mul_f64_e32 v[10:11], 0.5, v[21:22]
	s_delay_alu instid0(VALU_DEP_4) | instskip(SKIP_1) | instid1(VALU_DEP_3)
	v_mul_f64_e32 v[2:3], 0.5, v[2:3]
	s_wait_loadcnt 0x1
	v_mul_f64_e32 v[4:5], v[6:7], v[19:20]
	s_delay_alu instid0(VALU_DEP_2) | instskip(SKIP_1) | instid1(VALU_DEP_3)
	v_fma_f64 v[21:22], v[10:11], v[19:20], v[2:3]
	v_fma_f64 v[19:20], v[10:11], v[19:20], -v[2:3]
	v_fma_f64 v[23:24], v[0:1], 0.5, v[4:5]
	v_fma_f64 v[4:5], v[0:1], 0.5, -v[4:5]
	s_delay_alu instid0(VALU_DEP_4) | instskip(NEXT) | instid1(VALU_DEP_4)
	v_fma_f64 v[2:3], -v[17:18], v[6:7], v[21:22]
	v_fma_f64 v[6:7], -v[17:18], v[6:7], v[19:20]
	s_delay_alu instid0(VALU_DEP_4) | instskip(NEXT) | instid1(VALU_DEP_4)
	v_fma_f64 v[0:1], v[10:11], v[17:18], v[23:24]
	v_fma_f64 v[4:5], -v[10:11], v[17:18], v[4:5]
	v_lshlrev_b64_e32 v[10:11], 4, v[116:117]
	s_delay_alu instid0(VALU_DEP_1) | instskip(SKIP_1) | instid1(VALU_DEP_2)
	v_add_co_u32 v10, s0, s4, v10
	s_wait_alu 0xf1ff
	v_add_co_ci_u32_e64 v11, s0, s5, v11, s0
	s_add_nc_u64 s[0:1], s[4:5], 0xfc80
	global_load_b128 v[17:20], v[10:11], off offset:64640
	ds_store_b128 v106, v[0:3]
	ds_store_b128 v12, v[4:7] offset:49680
	ds_load_b128 v[0:3], v105
	ds_load_b128 v[4:7], v12 offset:47520
	s_wait_dscnt 0x0
	v_add_f64_e64 v[10:11], v[0:1], -v[4:5]
	v_add_f64_e32 v[21:22], v[2:3], v[6:7]
	v_add_f64_e64 v[2:3], v[2:3], -v[6:7]
	v_add_f64_e32 v[0:1], v[0:1], v[4:5]
	s_delay_alu instid0(VALU_DEP_4) | instskip(NEXT) | instid1(VALU_DEP_4)
	v_mul_f64_e32 v[6:7], 0.5, v[10:11]
	v_mul_f64_e32 v[10:11], 0.5, v[21:22]
	s_delay_alu instid0(VALU_DEP_4) | instskip(SKIP_1) | instid1(VALU_DEP_3)
	v_mul_f64_e32 v[2:3], 0.5, v[2:3]
	s_wait_loadcnt 0x1
	v_mul_f64_e32 v[4:5], v[6:7], v[15:16]
	s_delay_alu instid0(VALU_DEP_2) | instskip(SKIP_1) | instid1(VALU_DEP_3)
	v_fma_f64 v[21:22], v[10:11], v[15:16], v[2:3]
	v_fma_f64 v[2:3], v[10:11], v[15:16], -v[2:3]
	v_fma_f64 v[23:24], v[0:1], 0.5, v[4:5]
	v_fma_f64 v[0:1], v[0:1], 0.5, -v[4:5]
	s_delay_alu instid0(VALU_DEP_4) | instskip(NEXT) | instid1(VALU_DEP_4)
	v_fma_f64 v[4:5], -v[13:14], v[6:7], v[21:22]
	v_fma_f64 v[15:16], -v[13:14], v[6:7], v[2:3]
	s_delay_alu instid0(VALU_DEP_4) | instskip(NEXT) | instid1(VALU_DEP_4)
	v_fma_f64 v[2:3], v[10:11], v[13:14], v[23:24]
	v_fma_f64 v[13:14], -v[10:11], v[13:14], v[0:1]
	v_lshlrev_b64_e32 v[0:1], 4, v[8:9]
	s_wait_alu 0xfffe
	s_delay_alu instid0(VALU_DEP_1) | instskip(SKIP_1) | instid1(VALU_DEP_2)
	v_add_co_u32 v10, s0, s0, v0
	s_wait_alu 0xf1ff
	v_add_co_ci_u32_e64 v11, s0, s1, v1, s0
	global_load_b128 v[6:9], v[10:11], off offset:21600
	ds_store_b128 v105, v[2:5]
	ds_store_b128 v12, v[13:16] offset:47520
	ds_load_b128 v[2:5], v104
	ds_load_b128 v[13:16], v12 offset:45360
	s_wait_dscnt 0x0
	v_add_f64_e64 v[21:22], v[2:3], -v[13:14]
	v_add_f64_e32 v[23:24], v[4:5], v[15:16]
	v_add_f64_e64 v[4:5], v[4:5], -v[15:16]
	v_add_f64_e32 v[2:3], v[2:3], v[13:14]
	s_delay_alu instid0(VALU_DEP_4) | instskip(NEXT) | instid1(VALU_DEP_4)
	v_mul_f64_e32 v[15:16], 0.5, v[21:22]
	v_mul_f64_e32 v[21:22], 0.5, v[23:24]
	s_delay_alu instid0(VALU_DEP_4) | instskip(SKIP_1) | instid1(VALU_DEP_3)
	v_mul_f64_e32 v[4:5], 0.5, v[4:5]
	s_wait_loadcnt 0x1
	v_mul_f64_e32 v[13:14], v[15:16], v[19:20]
	s_delay_alu instid0(VALU_DEP_2) | instskip(SKIP_1) | instid1(VALU_DEP_3)
	v_fma_f64 v[23:24], v[21:22], v[19:20], v[4:5]
	v_fma_f64 v[19:20], v[21:22], v[19:20], -v[4:5]
	v_fma_f64 v[25:26], v[2:3], 0.5, v[13:14]
	v_fma_f64 v[13:14], v[2:3], 0.5, -v[13:14]
	s_delay_alu instid0(VALU_DEP_4) | instskip(NEXT) | instid1(VALU_DEP_4)
	v_fma_f64 v[4:5], -v[17:18], v[15:16], v[23:24]
	v_fma_f64 v[15:16], -v[17:18], v[15:16], v[19:20]
	s_delay_alu instid0(VALU_DEP_4) | instskip(NEXT) | instid1(VALU_DEP_4)
	v_fma_f64 v[2:3], v[21:22], v[17:18], v[25:26]
	v_fma_f64 v[13:14], -v[21:22], v[17:18], v[13:14]
	global_load_b128 v[17:20], v[10:11], off offset:23760
	ds_store_b128 v104, v[2:5]
	ds_store_b128 v12, v[13:16] offset:45360
	ds_load_b128 v[2:5], v127 offset:21600
	ds_load_b128 v[13:16], v12 offset:43200
	s_wait_dscnt 0x0
	v_add_f64_e64 v[21:22], v[2:3], -v[13:14]
	v_add_f64_e32 v[23:24], v[4:5], v[15:16]
	v_add_f64_e64 v[4:5], v[4:5], -v[15:16]
	v_add_f64_e32 v[2:3], v[2:3], v[13:14]
	s_delay_alu instid0(VALU_DEP_4) | instskip(NEXT) | instid1(VALU_DEP_4)
	v_mul_f64_e32 v[15:16], 0.5, v[21:22]
	v_mul_f64_e32 v[21:22], 0.5, v[23:24]
	s_delay_alu instid0(VALU_DEP_4) | instskip(SKIP_1) | instid1(VALU_DEP_3)
	v_mul_f64_e32 v[4:5], 0.5, v[4:5]
	s_wait_loadcnt 0x1
	v_mul_f64_e32 v[13:14], v[15:16], v[8:9]
	s_delay_alu instid0(VALU_DEP_2) | instskip(SKIP_1) | instid1(VALU_DEP_3)
	v_fma_f64 v[23:24], v[21:22], v[8:9], v[4:5]
	v_fma_f64 v[8:9], v[21:22], v[8:9], -v[4:5]
	v_fma_f64 v[25:26], v[2:3], 0.5, v[13:14]
	v_fma_f64 v[13:14], v[2:3], 0.5, -v[13:14]
	s_delay_alu instid0(VALU_DEP_4) | instskip(NEXT) | instid1(VALU_DEP_4)
	v_fma_f64 v[4:5], -v[6:7], v[15:16], v[23:24]
	v_fma_f64 v[8:9], -v[6:7], v[15:16], v[8:9]
	s_delay_alu instid0(VALU_DEP_4) | instskip(NEXT) | instid1(VALU_DEP_4)
	v_fma_f64 v[2:3], v[21:22], v[6:7], v[25:26]
	v_fma_f64 v[6:7], -v[21:22], v[6:7], v[13:14]
	global_load_b128 v[13:16], v[10:11], off offset:25920
	ds_store_b128 v127, v[2:5] offset:21600
	ds_store_b128 v12, v[6:9] offset:43200
	ds_load_b128 v[2:5], v127 offset:23760
	ds_load_b128 v[6:9], v12 offset:41040
	s_wait_dscnt 0x0
	v_add_f64_e64 v[21:22], v[2:3], -v[6:7]
	v_add_f64_e32 v[23:24], v[4:5], v[8:9]
	v_add_f64_e64 v[4:5], v[4:5], -v[8:9]
	v_add_f64_e32 v[2:3], v[2:3], v[6:7]
	s_delay_alu instid0(VALU_DEP_4) | instskip(NEXT) | instid1(VALU_DEP_4)
	v_mul_f64_e32 v[8:9], 0.5, v[21:22]
	v_mul_f64_e32 v[21:22], 0.5, v[23:24]
	s_delay_alu instid0(VALU_DEP_4) | instskip(SKIP_1) | instid1(VALU_DEP_3)
	v_mul_f64_e32 v[4:5], 0.5, v[4:5]
	s_wait_loadcnt 0x1
	v_mul_f64_e32 v[6:7], v[8:9], v[19:20]
	s_delay_alu instid0(VALU_DEP_2) | instskip(SKIP_1) | instid1(VALU_DEP_3)
	v_fma_f64 v[23:24], v[21:22], v[19:20], v[4:5]
	v_fma_f64 v[19:20], v[21:22], v[19:20], -v[4:5]
	v_fma_f64 v[25:26], v[2:3], 0.5, v[6:7]
	v_fma_f64 v[6:7], v[2:3], 0.5, -v[6:7]
	s_delay_alu instid0(VALU_DEP_4) | instskip(NEXT) | instid1(VALU_DEP_4)
	v_fma_f64 v[4:5], -v[17:18], v[8:9], v[23:24]
	v_fma_f64 v[8:9], -v[17:18], v[8:9], v[19:20]
	s_delay_alu instid0(VALU_DEP_4) | instskip(NEXT) | instid1(VALU_DEP_4)
	v_fma_f64 v[2:3], v[21:22], v[17:18], v[25:26]
	v_fma_f64 v[6:7], -v[21:22], v[17:18], v[6:7]
	global_load_b128 v[17:20], v[10:11], off offset:28080
	ds_store_b128 v127, v[2:5] offset:23760
	;; [unrolled: 28-line block ×3, first 2 shown]
	ds_store_b128 v12, v[6:9] offset:38880
	ds_load_b128 v[2:5], v127 offset:28080
	ds_load_b128 v[6:9], v12 offset:36720
	s_wait_dscnt 0x0
	v_add_f64_e64 v[10:11], v[2:3], -v[6:7]
	v_add_f64_e32 v[21:22], v[4:5], v[8:9]
	v_add_f64_e64 v[4:5], v[4:5], -v[8:9]
	v_add_f64_e32 v[2:3], v[2:3], v[6:7]
	s_delay_alu instid0(VALU_DEP_4) | instskip(NEXT) | instid1(VALU_DEP_4)
	v_mul_f64_e32 v[8:9], 0.5, v[10:11]
	v_mul_f64_e32 v[10:11], 0.5, v[21:22]
	s_delay_alu instid0(VALU_DEP_4) | instskip(SKIP_1) | instid1(VALU_DEP_3)
	v_mul_f64_e32 v[4:5], 0.5, v[4:5]
	s_wait_loadcnt 0x1
	v_mul_f64_e32 v[6:7], v[8:9], v[19:20]
	s_delay_alu instid0(VALU_DEP_2) | instskip(SKIP_1) | instid1(VALU_DEP_3)
	v_fma_f64 v[21:22], v[10:11], v[19:20], v[4:5]
	v_fma_f64 v[19:20], v[10:11], v[19:20], -v[4:5]
	v_fma_f64 v[23:24], v[2:3], 0.5, v[6:7]
	v_fma_f64 v[6:7], v[2:3], 0.5, -v[6:7]
	s_delay_alu instid0(VALU_DEP_4) | instskip(NEXT) | instid1(VALU_DEP_4)
	v_fma_f64 v[4:5], -v[17:18], v[8:9], v[21:22]
	v_fma_f64 v[8:9], -v[17:18], v[8:9], v[19:20]
	s_delay_alu instid0(VALU_DEP_4) | instskip(NEXT) | instid1(VALU_DEP_4)
	v_fma_f64 v[2:3], v[10:11], v[17:18], v[23:24]
	v_fma_f64 v[6:7], -v[10:11], v[17:18], v[6:7]
	ds_store_b128 v127, v[2:5] offset:28080
	ds_store_b128 v12, v[6:9] offset:36720
	ds_load_b128 v[2:5], v127 offset:30240
	ds_load_b128 v[6:9], v12 offset:34560
	s_wait_dscnt 0x0
	v_add_f64_e64 v[10:11], v[2:3], -v[6:7]
	v_add_f64_e32 v[17:18], v[4:5], v[8:9]
	v_add_f64_e64 v[4:5], v[4:5], -v[8:9]
	v_add_f64_e32 v[2:3], v[2:3], v[6:7]
	s_delay_alu instid0(VALU_DEP_4) | instskip(NEXT) | instid1(VALU_DEP_4)
	v_mul_f64_e32 v[8:9], 0.5, v[10:11]
	v_mul_f64_e32 v[10:11], 0.5, v[17:18]
	s_delay_alu instid0(VALU_DEP_4) | instskip(SKIP_1) | instid1(VALU_DEP_3)
	v_mul_f64_e32 v[4:5], 0.5, v[4:5]
	s_wait_loadcnt 0x0
	v_mul_f64_e32 v[6:7], v[8:9], v[15:16]
	s_delay_alu instid0(VALU_DEP_2) | instskip(SKIP_1) | instid1(VALU_DEP_3)
	v_fma_f64 v[17:18], v[10:11], v[15:16], v[4:5]
	v_fma_f64 v[15:16], v[10:11], v[15:16], -v[4:5]
	v_fma_f64 v[19:20], v[2:3], 0.5, v[6:7]
	v_fma_f64 v[6:7], v[2:3], 0.5, -v[6:7]
	s_delay_alu instid0(VALU_DEP_4) | instskip(NEXT) | instid1(VALU_DEP_4)
	v_fma_f64 v[4:5], -v[13:14], v[8:9], v[17:18]
	v_fma_f64 v[8:9], -v[13:14], v[8:9], v[15:16]
	s_delay_alu instid0(VALU_DEP_4) | instskip(NEXT) | instid1(VALU_DEP_4)
	v_fma_f64 v[2:3], v[10:11], v[13:14], v[19:20]
	v_fma_f64 v[6:7], -v[10:11], v[13:14], v[6:7]
	ds_store_b128 v127, v[2:5] offset:30240
	ds_store_b128 v12, v[6:9] offset:34560
	global_wb scope:SCOPE_SE
	s_wait_dscnt 0x0
	s_barrier_signal -1
	s_barrier_wait -1
	global_inv scope:SCOPE_SE
	s_and_saveexec_b32 s0, vcc_lo
	s_cbranch_execz .LBB0_20
; %bb.18:
	ds_load_b128 v[4:7], v127
	ds_load_b128 v[8:11], v127 offset:2160
	ds_load_b128 v[12:15], v127 offset:4320
	;; [unrolled: 1-line block ×9, first 2 shown]
	v_add_co_u32 v2, vcc_lo, s8, v114
	s_wait_alu 0xfffd
	v_add_co_ci_u32_e32 v3, vcc_lo, s9, v115, vcc_lo
	s_delay_alu instid0(VALU_DEP_2) | instskip(SKIP_1) | instid1(VALU_DEP_2)
	v_add_co_u32 v0, vcc_lo, v2, v0
	s_wait_alu 0xfffd
	v_add_co_ci_u32_e32 v1, vcc_lo, v3, v1, vcc_lo
	v_cmp_eq_u32_e32 vcc_lo, 0x86, v112
	s_wait_dscnt 0x9
	global_store_b128 v[0:1], v[4:7], off
	s_wait_dscnt 0x8
	global_store_b128 v[0:1], v[8:11], off offset:2160
	s_wait_dscnt 0x7
	global_store_b128 v[0:1], v[12:15], off offset:4320
	;; [unrolled: 2-line block ×9, first 2 shown]
	ds_load_b128 v[4:7], v127 offset:21600
	ds_load_b128 v[8:11], v127 offset:23760
	;; [unrolled: 1-line block ×20, first 2 shown]
	s_wait_dscnt 0x13
	global_store_b128 v[0:1], v[4:7], off offset:21600
	s_wait_dscnt 0x12
	global_store_b128 v[0:1], v[8:11], off offset:23760
	s_wait_dscnt 0x11
	global_store_b128 v[0:1], v[12:15], off offset:25920
	s_wait_dscnt 0x10
	global_store_b128 v[0:1], v[16:19], off offset:28080
	s_wait_dscnt 0xf
	global_store_b128 v[0:1], v[20:23], off offset:30240
	s_wait_dscnt 0xe
	global_store_b128 v[0:1], v[24:27], off offset:32400
	s_wait_dscnt 0xd
	global_store_b128 v[0:1], v[28:31], off offset:34560
	s_wait_dscnt 0xc
	global_store_b128 v[0:1], v[32:35], off offset:36720
	s_wait_dscnt 0xb
	global_store_b128 v[0:1], v[36:39], off offset:38880
	s_wait_dscnt 0xa
	global_store_b128 v[0:1], v[40:43], off offset:41040
	s_wait_dscnt 0x9
	global_store_b128 v[0:1], v[44:47], off offset:43200
	s_wait_dscnt 0x8
	global_store_b128 v[0:1], v[48:51], off offset:45360
	s_wait_dscnt 0x7
	global_store_b128 v[0:1], v[52:55], off offset:47520
	s_wait_dscnt 0x6
	global_store_b128 v[0:1], v[56:59], off offset:49680
	s_wait_dscnt 0x5
	global_store_b128 v[0:1], v[60:63], off offset:51840
	s_wait_dscnt 0x4
	global_store_b128 v[0:1], v[64:67], off offset:54000
	s_wait_dscnt 0x3
	global_store_b128 v[0:1], v[68:71], off offset:56160
	s_wait_dscnt 0x2
	global_store_b128 v[0:1], v[72:75], off offset:58320
	s_wait_dscnt 0x1
	global_store_b128 v[0:1], v[76:79], off offset:60480
	s_wait_dscnt 0x0
	global_store_b128 v[0:1], v[80:83], off offset:62640
	s_and_b32 exec_lo, exec_lo, vcc_lo
	s_cbranch_execz .LBB0_20
; %bb.19:
	v_mov_b32_e32 v0, 0
	ds_load_b128 v[4:7], v0 offset:64800
	s_wait_dscnt 0x0
	global_store_b128 v[2:3], v[4:7], off offset:64800
.LBB0_20:
	s_nop 0
	s_sendmsg sendmsg(MSG_DEALLOC_VGPRS)
	s_endpgm
	.section	.rodata,"a",@progbits
	.p2align	6, 0x0
	.amdhsa_kernel fft_rtc_fwd_len4050_factors_10_5_3_3_3_3_wgs_135_tpt_135_halfLds_dp_ip_CI_unitstride_sbrr_R2C_dirReg
		.amdhsa_group_segment_fixed_size 0
		.amdhsa_private_segment_fixed_size 0
		.amdhsa_kernarg_size 88
		.amdhsa_user_sgpr_count 2
		.amdhsa_user_sgpr_dispatch_ptr 0
		.amdhsa_user_sgpr_queue_ptr 0
		.amdhsa_user_sgpr_kernarg_segment_ptr 1
		.amdhsa_user_sgpr_dispatch_id 0
		.amdhsa_user_sgpr_private_segment_size 0
		.amdhsa_wavefront_size32 1
		.amdhsa_uses_dynamic_stack 0
		.amdhsa_enable_private_segment 0
		.amdhsa_system_sgpr_workgroup_id_x 1
		.amdhsa_system_sgpr_workgroup_id_y 0
		.amdhsa_system_sgpr_workgroup_id_z 0
		.amdhsa_system_sgpr_workgroup_info 0
		.amdhsa_system_vgpr_workitem_id 0
		.amdhsa_next_free_vgpr 230
		.amdhsa_next_free_sgpr 32
		.amdhsa_reserve_vcc 1
		.amdhsa_float_round_mode_32 0
		.amdhsa_float_round_mode_16_64 0
		.amdhsa_float_denorm_mode_32 3
		.amdhsa_float_denorm_mode_16_64 3
		.amdhsa_fp16_overflow 0
		.amdhsa_workgroup_processor_mode 1
		.amdhsa_memory_ordered 1
		.amdhsa_forward_progress 0
		.amdhsa_round_robin_scheduling 0
		.amdhsa_exception_fp_ieee_invalid_op 0
		.amdhsa_exception_fp_denorm_src 0
		.amdhsa_exception_fp_ieee_div_zero 0
		.amdhsa_exception_fp_ieee_overflow 0
		.amdhsa_exception_fp_ieee_underflow 0
		.amdhsa_exception_fp_ieee_inexact 0
		.amdhsa_exception_int_div_zero 0
	.end_amdhsa_kernel
	.text
.Lfunc_end0:
	.size	fft_rtc_fwd_len4050_factors_10_5_3_3_3_3_wgs_135_tpt_135_halfLds_dp_ip_CI_unitstride_sbrr_R2C_dirReg, .Lfunc_end0-fft_rtc_fwd_len4050_factors_10_5_3_3_3_3_wgs_135_tpt_135_halfLds_dp_ip_CI_unitstride_sbrr_R2C_dirReg
                                        ; -- End function
	.section	.AMDGPU.csdata,"",@progbits
; Kernel info:
; codeLenInByte = 25580
; NumSgprs: 34
; NumVgprs: 230
; ScratchSize: 0
; MemoryBound: 0
; FloatMode: 240
; IeeeMode: 1
; LDSByteSize: 0 bytes/workgroup (compile time only)
; SGPRBlocks: 4
; VGPRBlocks: 28
; NumSGPRsForWavesPerEU: 34
; NumVGPRsForWavesPerEU: 230
; Occupancy: 6
; WaveLimiterHint : 1
; COMPUTE_PGM_RSRC2:SCRATCH_EN: 0
; COMPUTE_PGM_RSRC2:USER_SGPR: 2
; COMPUTE_PGM_RSRC2:TRAP_HANDLER: 0
; COMPUTE_PGM_RSRC2:TGID_X_EN: 1
; COMPUTE_PGM_RSRC2:TGID_Y_EN: 0
; COMPUTE_PGM_RSRC2:TGID_Z_EN: 0
; COMPUTE_PGM_RSRC2:TIDIG_COMP_CNT: 0
	.text
	.p2alignl 7, 3214868480
	.fill 96, 4, 3214868480
	.type	__hip_cuid_b5469c31c7007e52,@object ; @__hip_cuid_b5469c31c7007e52
	.section	.bss,"aw",@nobits
	.globl	__hip_cuid_b5469c31c7007e52
__hip_cuid_b5469c31c7007e52:
	.byte	0                               ; 0x0
	.size	__hip_cuid_b5469c31c7007e52, 1

	.ident	"AMD clang version 19.0.0git (https://github.com/RadeonOpenCompute/llvm-project roc-6.4.0 25133 c7fe45cf4b819c5991fe208aaa96edf142730f1d)"
	.section	".note.GNU-stack","",@progbits
	.addrsig
	.addrsig_sym __hip_cuid_b5469c31c7007e52
	.amdgpu_metadata
---
amdhsa.kernels:
  - .args:
      - .actual_access:  read_only
        .address_space:  global
        .offset:         0
        .size:           8
        .value_kind:     global_buffer
      - .offset:         8
        .size:           8
        .value_kind:     by_value
      - .actual_access:  read_only
        .address_space:  global
        .offset:         16
        .size:           8
        .value_kind:     global_buffer
      - .actual_access:  read_only
        .address_space:  global
        .offset:         24
        .size:           8
        .value_kind:     global_buffer
      - .offset:         32
        .size:           8
        .value_kind:     by_value
      - .actual_access:  read_only
        .address_space:  global
        .offset:         40
        .size:           8
        .value_kind:     global_buffer
      - .actual_access:  read_only
        .address_space:  global
        .offset:         48
        .size:           8
        .value_kind:     global_buffer
      - .offset:         56
        .size:           4
        .value_kind:     by_value
      - .actual_access:  read_only
        .address_space:  global
        .offset:         64
        .size:           8
        .value_kind:     global_buffer
      - .actual_access:  read_only
        .address_space:  global
        .offset:         72
        .size:           8
        .value_kind:     global_buffer
      - .address_space:  global
        .offset:         80
        .size:           8
        .value_kind:     global_buffer
    .group_segment_fixed_size: 0
    .kernarg_segment_align: 8
    .kernarg_segment_size: 88
    .language:       OpenCL C
    .language_version:
      - 2
      - 0
    .max_flat_workgroup_size: 135
    .name:           fft_rtc_fwd_len4050_factors_10_5_3_3_3_3_wgs_135_tpt_135_halfLds_dp_ip_CI_unitstride_sbrr_R2C_dirReg
    .private_segment_fixed_size: 0
    .sgpr_count:     34
    .sgpr_spill_count: 0
    .symbol:         fft_rtc_fwd_len4050_factors_10_5_3_3_3_3_wgs_135_tpt_135_halfLds_dp_ip_CI_unitstride_sbrr_R2C_dirReg.kd
    .uniform_work_group_size: 1
    .uses_dynamic_stack: false
    .vgpr_count:     230
    .vgpr_spill_count: 0
    .wavefront_size: 32
    .workgroup_processor_mode: 1
amdhsa.target:   amdgcn-amd-amdhsa--gfx1201
amdhsa.version:
  - 1
  - 2
...

	.end_amdgpu_metadata
